;; amdgpu-corpus repo=ROCm/rocFFT kind=compiled arch=gfx906 opt=O3
	.text
	.amdgcn_target "amdgcn-amd-amdhsa--gfx906"
	.amdhsa_code_object_version 6
	.protected	fft_rtc_back_len663_factors_17_13_3_wgs_51_tpt_51_dp_ip_CI_unitstride_sbrr_dirReg ; -- Begin function fft_rtc_back_len663_factors_17_13_3_wgs_51_tpt_51_dp_ip_CI_unitstride_sbrr_dirReg
	.globl	fft_rtc_back_len663_factors_17_13_3_wgs_51_tpt_51_dp_ip_CI_unitstride_sbrr_dirReg
	.p2align	8
	.type	fft_rtc_back_len663_factors_17_13_3_wgs_51_tpt_51_dp_ip_CI_unitstride_sbrr_dirReg,@function
fft_rtc_back_len663_factors_17_13_3_wgs_51_tpt_51_dp_ip_CI_unitstride_sbrr_dirReg: ; @fft_rtc_back_len663_factors_17_13_3_wgs_51_tpt_51_dp_ip_CI_unitstride_sbrr_dirReg
; %bb.0:
	s_mov_b64 s[58:59], s[2:3]
	s_mov_b64 s[56:57], s[0:1]
	s_load_dwordx2 s[12:13], s[4:5], 0x50
	s_load_dwordx4 s[8:11], s[4:5], 0x0
	s_load_dwordx2 s[2:3], s[4:5], 0x18
	v_mul_u32_u24_e32 v1, 0x506, v0
	s_add_u32 s56, s56, s7
	v_add_u32_sdwa v5, s6, v1 dst_sel:DWORD dst_unused:UNUSED_PAD src0_sel:DWORD src1_sel:WORD_1
	s_waitcnt lgkmcnt(0)
	v_cmp_lt_u64_e64 s[0:1], s[10:11], 2
	v_mov_b32_e32 v3, 0
	v_mov_b32_e32 v1, 0
	s_addc_u32 s57, s57, 0
	v_mov_b32_e32 v6, v3
	s_and_b64 vcc, exec, s[0:1]
	v_mov_b32_e32 v2, 0
	s_cbranch_vccnz .LBB0_8
; %bb.1:
	s_load_dwordx2 s[0:1], s[4:5], 0x10
	s_add_u32 s6, s2, 8
	s_addc_u32 s7, s3, 0
	v_mov_b32_e32 v1, 0
	v_mov_b32_e32 v2, 0
	s_waitcnt lgkmcnt(0)
	s_add_u32 s14, s0, 8
	s_addc_u32 s15, s1, 0
	s_mov_b64 s[16:17], 1
.LBB0_2:                                ; =>This Inner Loop Header: Depth=1
	s_load_dwordx2 s[18:19], s[14:15], 0x0
                                        ; implicit-def: $vgpr7_vgpr8
	s_waitcnt lgkmcnt(0)
	v_or_b32_e32 v4, s19, v6
	v_cmp_ne_u64_e32 vcc, 0, v[3:4]
	s_and_saveexec_b64 s[0:1], vcc
	s_xor_b64 s[20:21], exec, s[0:1]
	s_cbranch_execz .LBB0_4
; %bb.3:                                ;   in Loop: Header=BB0_2 Depth=1
	v_cvt_f32_u32_e32 v4, s18
	v_cvt_f32_u32_e32 v7, s19
	s_sub_u32 s0, 0, s18
	s_subb_u32 s1, 0, s19
	v_mac_f32_e32 v4, 0x4f800000, v7
	v_rcp_f32_e32 v4, v4
	v_mul_f32_e32 v4, 0x5f7ffffc, v4
	v_mul_f32_e32 v7, 0x2f800000, v4
	v_trunc_f32_e32 v7, v7
	v_mac_f32_e32 v4, 0xcf800000, v7
	v_cvt_u32_f32_e32 v7, v7
	v_cvt_u32_f32_e32 v4, v4
	v_mul_lo_u32 v8, s0, v7
	v_mul_hi_u32 v9, s0, v4
	v_mul_lo_u32 v11, s1, v4
	v_mul_lo_u32 v10, s0, v4
	v_add_u32_e32 v8, v9, v8
	v_add_u32_e32 v8, v8, v11
	v_mul_hi_u32 v9, v4, v10
	v_mul_lo_u32 v11, v4, v8
	v_mul_hi_u32 v13, v4, v8
	v_mul_hi_u32 v12, v7, v10
	v_mul_lo_u32 v10, v7, v10
	v_mul_hi_u32 v14, v7, v8
	v_add_co_u32_e32 v9, vcc, v9, v11
	v_addc_co_u32_e32 v11, vcc, 0, v13, vcc
	v_mul_lo_u32 v8, v7, v8
	v_add_co_u32_e32 v9, vcc, v9, v10
	v_addc_co_u32_e32 v9, vcc, v11, v12, vcc
	v_addc_co_u32_e32 v10, vcc, 0, v14, vcc
	v_add_co_u32_e32 v8, vcc, v9, v8
	v_addc_co_u32_e32 v9, vcc, 0, v10, vcc
	v_add_co_u32_e32 v4, vcc, v4, v8
	v_addc_co_u32_e32 v7, vcc, v7, v9, vcc
	v_mul_lo_u32 v8, s0, v7
	v_mul_hi_u32 v9, s0, v4
	v_mul_lo_u32 v10, s1, v4
	v_mul_lo_u32 v11, s0, v4
	v_add_u32_e32 v8, v9, v8
	v_add_u32_e32 v8, v8, v10
	v_mul_lo_u32 v12, v4, v8
	v_mul_hi_u32 v13, v4, v11
	v_mul_hi_u32 v14, v4, v8
	v_mul_hi_u32 v10, v7, v11
	v_mul_lo_u32 v11, v7, v11
	v_mul_hi_u32 v9, v7, v8
	v_add_co_u32_e32 v12, vcc, v13, v12
	v_addc_co_u32_e32 v13, vcc, 0, v14, vcc
	v_mul_lo_u32 v8, v7, v8
	v_add_co_u32_e32 v11, vcc, v12, v11
	v_addc_co_u32_e32 v10, vcc, v13, v10, vcc
	v_addc_co_u32_e32 v9, vcc, 0, v9, vcc
	v_add_co_u32_e32 v8, vcc, v10, v8
	v_addc_co_u32_e32 v9, vcc, 0, v9, vcc
	v_add_co_u32_e32 v4, vcc, v4, v8
	v_addc_co_u32_e32 v9, vcc, v7, v9, vcc
	v_mad_u64_u32 v[7:8], s[0:1], v5, v9, 0
	v_mul_hi_u32 v10, v5, v4
	v_add_co_u32_e32 v11, vcc, v10, v7
	v_addc_co_u32_e32 v12, vcc, 0, v8, vcc
	v_mad_u64_u32 v[7:8], s[0:1], v6, v4, 0
	v_mad_u64_u32 v[9:10], s[0:1], v6, v9, 0
	v_add_co_u32_e32 v4, vcc, v11, v7
	v_addc_co_u32_e32 v4, vcc, v12, v8, vcc
	v_addc_co_u32_e32 v7, vcc, 0, v10, vcc
	v_add_co_u32_e32 v4, vcc, v4, v9
	v_addc_co_u32_e32 v9, vcc, 0, v7, vcc
	v_mul_lo_u32 v10, s19, v4
	v_mul_lo_u32 v11, s18, v9
	v_mad_u64_u32 v[7:8], s[0:1], s18, v4, 0
	v_add3_u32 v8, v8, v11, v10
	v_sub_u32_e32 v10, v6, v8
	v_mov_b32_e32 v11, s19
	v_sub_co_u32_e32 v7, vcc, v5, v7
	v_subb_co_u32_e64 v10, s[0:1], v10, v11, vcc
	v_subrev_co_u32_e64 v11, s[0:1], s18, v7
	v_subbrev_co_u32_e64 v10, s[0:1], 0, v10, s[0:1]
	v_cmp_le_u32_e64 s[0:1], s19, v10
	v_cndmask_b32_e64 v12, 0, -1, s[0:1]
	v_cmp_le_u32_e64 s[0:1], s18, v11
	v_cndmask_b32_e64 v11, 0, -1, s[0:1]
	v_cmp_eq_u32_e64 s[0:1], s19, v10
	v_cndmask_b32_e64 v10, v12, v11, s[0:1]
	v_add_co_u32_e64 v11, s[0:1], 2, v4
	v_addc_co_u32_e64 v12, s[0:1], 0, v9, s[0:1]
	v_add_co_u32_e64 v13, s[0:1], 1, v4
	v_addc_co_u32_e64 v14, s[0:1], 0, v9, s[0:1]
	v_subb_co_u32_e32 v8, vcc, v6, v8, vcc
	v_cmp_ne_u32_e64 s[0:1], 0, v10
	v_cmp_le_u32_e32 vcc, s19, v8
	v_cndmask_b32_e64 v10, v14, v12, s[0:1]
	v_cndmask_b32_e64 v12, 0, -1, vcc
	v_cmp_le_u32_e32 vcc, s18, v7
	v_cndmask_b32_e64 v7, 0, -1, vcc
	v_cmp_eq_u32_e32 vcc, s19, v8
	v_cndmask_b32_e32 v7, v12, v7, vcc
	v_cmp_ne_u32_e32 vcc, 0, v7
	v_cndmask_b32_e64 v7, v13, v11, s[0:1]
	v_cndmask_b32_e32 v8, v9, v10, vcc
	v_cndmask_b32_e32 v7, v4, v7, vcc
.LBB0_4:                                ;   in Loop: Header=BB0_2 Depth=1
	s_andn2_saveexec_b64 s[0:1], s[20:21]
	s_cbranch_execz .LBB0_6
; %bb.5:                                ;   in Loop: Header=BB0_2 Depth=1
	v_cvt_f32_u32_e32 v4, s18
	s_sub_i32 s20, 0, s18
	v_rcp_iflag_f32_e32 v4, v4
	v_mul_f32_e32 v4, 0x4f7ffffe, v4
	v_cvt_u32_f32_e32 v4, v4
	v_mul_lo_u32 v7, s20, v4
	v_mul_hi_u32 v7, v4, v7
	v_add_u32_e32 v4, v4, v7
	v_mul_hi_u32 v4, v5, v4
	v_mul_lo_u32 v7, v4, s18
	v_add_u32_e32 v8, 1, v4
	v_sub_u32_e32 v7, v5, v7
	v_subrev_u32_e32 v9, s18, v7
	v_cmp_le_u32_e32 vcc, s18, v7
	v_cndmask_b32_e32 v7, v7, v9, vcc
	v_cndmask_b32_e32 v4, v4, v8, vcc
	v_add_u32_e32 v8, 1, v4
	v_cmp_le_u32_e32 vcc, s18, v7
	v_cndmask_b32_e32 v7, v4, v8, vcc
	v_mov_b32_e32 v8, v3
.LBB0_6:                                ;   in Loop: Header=BB0_2 Depth=1
	s_or_b64 exec, exec, s[0:1]
	v_mul_lo_u32 v4, v8, s18
	v_mul_lo_u32 v11, v7, s19
	v_mad_u64_u32 v[9:10], s[0:1], v7, s18, 0
	s_load_dwordx2 s[0:1], s[6:7], 0x0
	s_add_u32 s16, s16, 1
	v_add3_u32 v4, v10, v11, v4
	v_sub_co_u32_e32 v5, vcc, v5, v9
	v_subb_co_u32_e32 v4, vcc, v6, v4, vcc
	s_waitcnt lgkmcnt(0)
	v_mul_lo_u32 v4, s0, v4
	v_mul_lo_u32 v6, s1, v5
	v_mad_u64_u32 v[1:2], s[0:1], s0, v5, v[1:2]
	s_addc_u32 s17, s17, 0
	s_add_u32 s6, s6, 8
	v_add3_u32 v2, v6, v2, v4
	v_mov_b32_e32 v4, s10
	v_mov_b32_e32 v5, s11
	s_addc_u32 s7, s7, 0
	v_cmp_ge_u64_e32 vcc, s[16:17], v[4:5]
	s_add_u32 s14, s14, 8
	s_addc_u32 s15, s15, 0
	s_cbranch_vccnz .LBB0_9
; %bb.7:                                ;   in Loop: Header=BB0_2 Depth=1
	v_mov_b32_e32 v5, v7
	v_mov_b32_e32 v6, v8
	s_branch .LBB0_2
.LBB0_8:
	v_mov_b32_e32 v8, v6
	v_mov_b32_e32 v7, v5
.LBB0_9:
	s_lshl_b64 s[0:1], s[10:11], 3
	s_add_u32 s0, s2, s0
	s_addc_u32 s1, s3, s1
	s_load_dwordx2 s[2:3], s[0:1], 0x0
	s_load_dwordx2 s[6:7], s[4:5], 0x20
                                        ; implicit-def: $vgpr42_vgpr43
                                        ; implicit-def: $vgpr38_vgpr39
                                        ; implicit-def: $vgpr34_vgpr35
                                        ; implicit-def: $vgpr46_vgpr47
                                        ; implicit-def: $vgpr50_vgpr51
                                        ; implicit-def: $vgpr54_vgpr55
                                        ; implicit-def: $vgpr58_vgpr59
                                        ; implicit-def: $vgpr62_vgpr63
                                        ; implicit-def: $vgpr66_vgpr67
                                        ; implicit-def: $vgpr70_vgpr71
                                        ; implicit-def: $vgpr74_vgpr75
                                        ; implicit-def: $vgpr30_vgpr31
                                        ; implicit-def: $vgpr26_vgpr27
                                        ; implicit-def: $vgpr22_vgpr23
                                        ; implicit-def: $vgpr18_vgpr19
                                        ; implicit-def: $vgpr14_vgpr15
                                        ; implicit-def: $vgpr10_vgpr11
	s_waitcnt lgkmcnt(0)
	v_mad_u64_u32 v[1:2], s[0:1], s2, v7, v[1:2]
	s_mov_b32 s0, 0x5050506
	v_mul_lo_u32 v3, s2, v8
	v_mul_lo_u32 v4, s3, v7
	v_mul_hi_u32 v5, v0, s0
	v_cmp_gt_u64_e32 vcc, s[6:7], v[7:8]
	v_add3_u32 v2, v4, v2, v3
	v_mul_u32_u24_e32 v3, 51, v5
	v_sub_u32_e32 v104, v0, v3
	v_cmp_gt_u32_e64 s[0:1], 39, v104
	v_lshlrev_b64 v[168:169], 4, v[1:2]
	s_and_b64 s[2:3], vcc, s[0:1]
	s_and_saveexec_b64 s[4:5], s[2:3]
	s_cbranch_execz .LBB0_11
; %bb.10:
	v_mov_b32_e32 v105, 0
	v_mov_b32_e32 v0, s13
	v_add_co_u32_e64 v2, s[2:3], s12, v168
	v_addc_co_u32_e64 v3, s[2:3], v0, v169, s[2:3]
	v_lshlrev_b64 v[0:1], 4, v[104:105]
	v_add_co_u32_e64 v0, s[2:3], v2, v0
	v_addc_co_u32_e64 v1, s[2:3], v3, v1, s[2:3]
	s_movk_i32 s2, 0x1000
	v_add_co_u32_e64 v2, s[2:3], s2, v0
	v_addc_co_u32_e64 v3, s[2:3], 0, v1, s[2:3]
	s_movk_i32 s2, 0x2000
	v_add_co_u32_e64 v4, s[2:3], s2, v0
	global_load_dwordx4 v[8:11], v[0:1], off
	global_load_dwordx4 v[12:15], v[0:1], off offset:624
	global_load_dwordx4 v[16:19], v[0:1], off offset:1248
	;; [unrolled: 1-line block ×5, first 2 shown]
	v_addc_co_u32_e64 v5, s[2:3], 0, v1, s[2:3]
	global_load_dwordx4 v[72:75], v[0:1], off offset:3744
	global_load_dwordx4 v[68:71], v[2:3], off offset:272
	;; [unrolled: 1-line block ×11, first 2 shown]
.LBB0_11:
	s_or_b64 exec, exec, s[4:5]
	s_waitcnt vmcnt(0)
	v_add_f64 v[108:109], v[14:15], -v[42:43]
	v_add_f64 v[142:143], v[12:13], -v[40:41]
	s_mov_b32 s2, 0x7c9e640b
	s_mov_b32 s3, 0xbfeca52d
	v_add_f64 v[110:111], v[40:41], v[12:13]
	v_add_f64 v[112:113], v[18:19], -v[38:39]
	v_add_f64 v[116:117], v[42:43], v[14:15]
	v_add_f64 v[144:145], v[16:17], -v[36:37]
	v_mul_f64 v[88:89], v[108:109], s[2:3]
	v_mul_f64 v[182:183], v[142:143], s[2:3]
	s_mov_b32 s4, 0x2b2883cd
	s_mov_b32 s6, 0x6c9a05f6
	;; [unrolled: 1-line block ×4, first 2 shown]
	v_add_f64 v[114:115], v[36:37], v[16:17]
	v_mul_f64 v[90:91], v[112:113], s[6:7]
	v_fma_f64 v[0:1], v[110:111], s[4:5], -v[88:89]
	v_add_f64 v[118:119], v[38:39], v[18:19]
	v_add_f64 v[120:121], v[22:23], -v[34:35]
	v_mul_f64 v[184:185], v[144:145], s[6:7]
	v_fma_f64 v[4:5], v[116:117], s[4:5], v[182:183]
	v_add_f64 v[132:133], v[20:21], -v[32:33]
	s_mov_b32 s10, 0x6ed5f1bb
	s_mov_b32 s14, 0xacd6c6b4
	;; [unrolled: 1-line block ×6, first 2 shown]
	v_fma_f64 v[2:3], v[114:115], s[10:11], -v[90:91]
	v_add_f64 v[0:1], v[8:9], v[0:1]
	v_add_f64 v[124:125], v[32:33], v[20:21]
	v_mul_f64 v[92:93], v[120:121], s[16:17]
	v_add_f64 v[4:5], v[10:11], v[4:5]
	v_fma_f64 v[6:7], v[118:119], s[10:11], v[184:185]
	v_add_f64 v[122:123], v[34:35], v[22:23]
	v_mul_f64 v[186:187], v[132:133], s[16:17]
	v_add_f64 v[126:127], v[26:27], -v[46:47]
	v_add_f64 v[140:141], v[24:25], -v[44:45]
	s_mov_b32 s18, 0x7faef3
	s_mov_b32 s20, 0x923c349f
	;; [unrolled: 1-line block ×4, first 2 shown]
	v_add_f64 v[0:1], v[2:3], v[0:1]
	v_fma_f64 v[2:3], v[124:125], s[18:19], -v[92:93]
	v_add_f64 v[4:5], v[6:7], v[4:5]
	v_fma_f64 v[6:7], v[122:123], s[18:19], v[186:187]
	v_add_f64 v[134:135], v[44:45], v[24:25]
	v_mul_f64 v[94:95], v[126:127], s[20:21]
	v_add_f64 v[128:129], v[46:47], v[26:27]
	v_mul_f64 v[188:189], v[140:141], s[20:21]
	v_add_f64 v[130:131], v[30:31], -v[50:51]
	v_add_f64 v[148:149], v[28:29], -v[48:49]
	s_mov_b32 s22, 0xc61f0d01
	s_mov_b32 s24, 0x2a9d6da3
	;; [unrolled: 1-line block ×4, first 2 shown]
	v_add_f64 v[0:1], v[2:3], v[0:1]
	v_add_f64 v[2:3], v[6:7], v[4:5]
	v_fma_f64 v[4:5], v[134:135], s[22:23], -v[94:95]
	v_fma_f64 v[6:7], v[128:129], s[22:23], v[188:189]
	v_add_f64 v[146:147], v[48:49], v[28:29]
	v_mul_f64 v[180:181], v[130:131], s[24:25]
	v_add_f64 v[136:137], v[50:51], v[30:31]
	v_mul_f64 v[192:193], v[148:149], s[24:25]
	s_mov_b32 s26, 0x75d4884
	s_mov_b32 s30, 0xeb564b22
	;; [unrolled: 1-line block ×4, first 2 shown]
	v_add_f64 v[0:1], v[4:5], v[0:1]
	v_add_f64 v[2:3], v[6:7], v[2:3]
	v_fma_f64 v[4:5], v[146:147], s[26:27], -v[180:181]
	v_fma_f64 v[6:7], v[136:137], s[26:27], v[192:193]
	v_add_f64 v[138:139], v[74:75], -v[54:55]
	v_add_f64 v[150:151], v[72:73], -v[52:53]
	v_mul_f64 v[218:219], v[108:109], s[30:31]
	v_mul_f64 v[232:233], v[142:143], s[30:31]
	s_mov_b32 s28, 0x5d8e7cdc
	s_mov_b32 s38, 0x3259b75e
	s_mov_b32 s29, 0x3fd71e95
	s_mov_b32 s35, 0xbfd71e95
	s_mov_b32 s34, s28
	s_mov_b32 s39, 0x3fb79ee6
	v_add_f64 v[0:1], v[4:5], v[0:1]
	v_add_f64 v[2:3], v[6:7], v[2:3]
	;; [unrolled: 1-line block ×3, first 2 shown]
	v_mul_f64 v[190:191], v[138:139], s[34:35]
	v_add_f64 v[152:153], v[54:55], v[74:75]
	v_mul_f64 v[198:199], v[150:151], s[34:35]
	v_fma_f64 v[4:5], v[110:111], s[38:39], -v[218:219]
	v_mul_f64 v[214:215], v[112:113], s[14:15]
	v_fma_f64 v[6:7], v[116:117], s[38:39], v[232:233]
	v_mul_f64 v[228:229], v[144:145], s[14:15]
	s_mov_b32 s42, 0x370991
	s_mov_b32 s43, 0x3fedd6d0
	v_fma_f64 v[76:77], v[158:159], s[42:43], -v[190:191]
	v_fma_f64 v[78:79], v[152:153], s[42:43], v[198:199]
	v_add_f64 v[4:5], v[8:9], v[4:5]
	v_fma_f64 v[80:81], v[114:115], s[18:19], -v[214:215]
	v_add_f64 v[6:7], v[10:11], v[6:7]
	v_fma_f64 v[82:83], v[118:119], s[18:19], v[228:229]
	v_mul_f64 v[220:221], v[120:121], s[20:21]
	v_mul_f64 v[230:231], v[132:133], s[20:21]
	v_add_f64 v[0:1], v[76:77], v[0:1]
	v_add_f64 v[2:3], v[78:79], v[2:3]
	v_mul_f64 v[216:217], v[126:127], s[28:29]
	v_add_f64 v[4:5], v[80:81], v[4:5]
	v_mul_f64 v[222:223], v[140:141], s[28:29]
	v_add_f64 v[6:7], v[82:83], v[6:7]
	v_fma_f64 v[76:77], v[124:125], s[22:23], -v[220:221]
	v_fma_f64 v[78:79], v[122:123], s[22:23], v[230:231]
	v_mul_f64 v[210:211], v[130:131], s[2:3]
	v_mul_f64 v[226:227], v[148:149], s[2:3]
	s_mov_b32 s40, 0x4363dd80
	s_mov_b32 s41, 0xbfe0d888
	v_add_f64 v[154:155], v[70:71], -v[58:59]
	v_add_f64 v[166:167], v[68:69], -v[56:57]
	v_add_f64 v[4:5], v[76:77], v[4:5]
	v_add_f64 v[6:7], v[78:79], v[6:7]
	v_fma_f64 v[76:77], v[134:135], s[42:43], -v[216:217]
	v_fma_f64 v[78:79], v[128:129], s[42:43], v[222:223]
	v_mul_f64 v[208:209], v[138:139], s[40:41]
	v_mul_f64 v[224:225], v[150:151], s[40:41]
	s_mov_b32 s44, 0x910ea3b9
	s_mov_b32 s45, 0xbfeb34fa
	;; [unrolled: 1-line block ×4, first 2 shown]
	v_add_f64 v[4:5], v[76:77], v[4:5]
	v_add_f64 v[6:7], v[78:79], v[6:7]
	v_fma_f64 v[76:77], v[146:147], s[4:5], -v[210:211]
	v_fma_f64 v[78:79], v[136:137], s[4:5], v[226:227]
	v_add_f64 v[164:165], v[56:57], v[68:69]
	v_mul_f64 v[194:195], v[154:155], s[30:31]
	v_add_f64 v[156:157], v[58:59], v[70:71]
	v_mul_f64 v[200:201], v[166:167], s[30:31]
	v_add_f64 v[160:161], v[66:67], -v[62:63]
	v_add_f64 v[174:175], v[64:65], -v[60:61]
	v_add_f64 v[4:5], v[76:77], v[4:5]
	v_add_f64 v[6:7], v[78:79], v[6:7]
	v_fma_f64 v[76:77], v[158:159], s[44:45], -v[208:209]
	v_fma_f64 v[78:79], v[152:153], s[44:45], v[224:225]
	v_mul_f64 v[206:207], v[154:155], s[46:47]
	v_mul_f64 v[234:235], v[166:167], s[46:47]
	v_fma_f64 v[80:81], v[164:165], s[38:39], -v[194:195]
	v_fma_f64 v[82:83], v[156:157], s[38:39], v[200:201]
	v_add_f64 v[176:177], v[60:61], v[64:65]
	v_mul_f64 v[196:197], v[160:161], s[40:41]
	v_add_f64 v[162:163], v[62:63], v[66:67]
	v_mul_f64 v[202:203], v[174:175], s[40:41]
	v_add_f64 v[4:5], v[76:77], v[4:5]
	v_add_f64 v[6:7], v[78:79], v[6:7]
	v_fma_f64 v[76:77], v[164:165], s[10:11], -v[206:207]
	v_fma_f64 v[78:79], v[156:157], s[10:11], v[234:235]
	v_mul_f64 v[204:205], v[160:161], s[24:25]
	v_mul_f64 v[212:213], v[174:175], s[24:25]
	v_add_f64 v[0:1], v[80:81], v[0:1]
	v_add_f64 v[2:3], v[82:83], v[2:3]
	v_fma_f64 v[80:81], v[176:177], s[44:45], -v[196:197]
	v_fma_f64 v[82:83], v[162:163], s[44:45], v[202:203]
	v_add_f64 v[76:77], v[76:77], v[4:5]
	v_add_f64 v[78:79], v[78:79], v[6:7]
	v_fma_f64 v[84:85], v[176:177], s[26:27], -v[204:205]
	v_fma_f64 v[86:87], v[162:163], s[26:27], v[212:213]
	v_add_f64 v[4:5], v[80:81], v[0:1]
	v_add_f64 v[6:7], v[82:83], v[2:3]
	;; [unrolled: 1-line block ×4, first 2 shown]
	s_and_saveexec_b64 s[36:37], s[0:1]
	s_cbranch_execz .LBB0_13
; %bb.12:
	buffer_store_dword v88, off, s[56:59], 0 offset:48 ; 4-byte Folded Spill
	s_nop 0
	buffer_store_dword v89, off, s[56:59], 0 offset:52 ; 4-byte Folded Spill
	v_mul_f64 v[80:81], v[142:143], s[14:15]
	v_mul_f64 v[88:89], v[110:111], s[18:19]
	buffer_store_dword v90, off, s[56:59], 0 offset:40 ; 4-byte Folded Spill
	s_nop 0
	buffer_store_dword v91, off, s[56:59], 0 offset:44 ; 4-byte Folded Spill
	v_mul_f64 v[82:83], v[144:145], s[28:29]
	v_mul_f64 v[98:99], v[114:115], s[42:43]
	buffer_store_dword v92, off, s[56:59], 0 offset:32 ; 4-byte Folded Spill
	s_nop 0
	buffer_store_dword v93, off, s[56:59], 0 offset:36 ; 4-byte Folded Spill
	buffer_store_dword v94, off, s[56:59], 0 offset:24 ; 4-byte Folded Spill
	s_nop 0
	buffer_store_dword v95, off, s[56:59], 0 offset:28 ; 4-byte Folded Spill
	v_mul_f64 v[94:95], v[132:133], s[40:41]
	v_fma_f64 v[90:91], v[116:117], s[18:19], v[80:81]
	v_fma_f64 v[100:101], v[108:109], s[16:17], v[88:89]
	v_fma_f64 v[80:81], v[116:117], s[18:19], -v[80:81]
	v_fma_f64 v[96:97], v[118:119], s[42:43], v[82:83]
	v_mul_f64 v[240:241], v[124:125], s[44:45]
	v_fma_f64 v[242:243], v[112:113], s[34:35], v[98:99]
	s_mov_b32 s53, 0x3fe0d888
	s_mov_b32 s52, s40
	v_add_f64 v[90:91], v[10:11], v[90:91]
	v_add_f64 v[100:101], v[8:9], v[100:101]
	v_mul_f64 v[92:93], v[140:141], s[24:25]
	v_fma_f64 v[238:239], v[122:123], s[44:45], v[94:95]
	v_fma_f64 v[82:83], v[118:119], s[42:43], -v[82:83]
	v_add_f64 v[80:81], v[10:11], v[80:81]
	v_fma_f64 v[244:245], v[120:121], s[52:53], v[240:241]
	s_mov_b32 s55, 0xbfe58eea
	v_add_f64 v[90:91], v[96:97], v[90:91]
	v_mul_f64 v[96:97], v[134:135], s[26:27]
	v_add_f64 v[100:101], v[242:243], v[100:101]
	s_mov_b32 s54, s24
	v_mul_f64 v[102:103], v[148:149], s[6:7]
	v_fma_f64 v[236:237], v[128:129], s[26:27], v[92:93]
	v_fma_f64 v[94:95], v[122:123], s[44:45], -v[94:95]
	v_add_f64 v[80:81], v[82:83], v[80:81]
	v_add_f64 v[90:91], v[238:239], v[90:91]
	v_mul_f64 v[238:239], v[146:147], s[10:11]
	v_fma_f64 v[82:83], v[126:127], s[54:55], v[96:97]
	v_add_f64 v[100:101], v[244:245], v[100:101]
	s_mov_b32 s51, 0x3feca52d
	s_mov_b32 s50, s2
	v_mul_f64 v[242:243], v[150:151], s[50:51]
	v_fma_f64 v[244:245], v[136:137], s[10:11], v[102:103]
	v_fma_f64 v[92:93], v[128:129], s[26:27], -v[92:93]
	v_add_f64 v[80:81], v[94:95], v[80:81]
	v_add_f64 v[90:91], v[236:237], v[90:91]
	v_mul_f64 v[94:95], v[158:159], s[4:5]
	v_fma_f64 v[236:237], v[130:131], s[46:47], v[238:239]
	v_add_f64 v[82:83], v[82:83], v[100:101]
	v_fma_f64 v[88:89], v[108:109], s[14:15], v[88:89]
	s_mov_b32 s49, 0xbfeec746
	s_mov_b32 s48, s20
	v_mul_f64 v[78:79], v[166:167], s[48:49]
	v_fma_f64 v[100:101], v[152:153], s[4:5], v[242:243]
	v_fma_f64 v[102:103], v[136:137], s[10:11], -v[102:103]
	v_add_f64 v[80:81], v[92:93], v[80:81]
	v_add_f64 v[90:91], v[244:245], v[90:91]
	v_mul_f64 v[92:93], v[164:165], s[22:23]
	v_fma_f64 v[244:245], v[138:139], s[2:3], v[94:95]
	v_add_f64 v[82:83], v[236:237], v[82:83]
	v_fma_f64 v[98:99], v[112:113], s[28:29], v[98:99]
	v_add_f64 v[88:89], v[8:9], v[88:89]
	s_mov_b32 s1, 0x3fefdd0d
	s_mov_b32 s0, s30
	v_mul_f64 v[76:77], v[174:175], s[0:1]
	v_fma_f64 v[86:87], v[156:157], s[22:23], v[78:79]
	v_fma_f64 v[236:237], v[152:153], s[4:5], -v[242:243]
	v_add_f64 v[80:81], v[102:103], v[80:81]
	v_add_f64 v[90:91], v[100:101], v[90:91]
	v_mul_f64 v[100:101], v[176:177], s[38:39]
	v_fma_f64 v[102:103], v[154:155], s[20:21], v[92:93]
	v_add_f64 v[82:83], v[244:245], v[82:83]
	v_fma_f64 v[240:241], v[120:121], s[40:41], v[240:241]
	v_add_f64 v[88:89], v[98:99], v[88:89]
	v_fma_f64 v[84:85], v[162:163], s[38:39], v[76:77]
	v_fma_f64 v[78:79], v[156:157], s[22:23], -v[78:79]
	v_add_f64 v[80:81], v[236:237], v[80:81]
	v_add_f64 v[86:87], v[86:87], v[90:91]
	v_fma_f64 v[90:91], v[160:161], s[30:31], v[100:101]
	v_mul_f64 v[98:99], v[142:143], s[40:41]
	v_add_f64 v[82:83], v[102:103], v[82:83]
	v_fma_f64 v[96:97], v[126:127], s[24:25], v[96:97]
	v_add_f64 v[88:89], v[240:241], v[88:89]
	v_fma_f64 v[102:103], v[162:163], s[38:39], -v[76:77]
	v_add_f64 v[80:81], v[78:79], v[80:81]
	v_add_f64 v[78:79], v[84:85], v[86:87]
	v_mul_f64 v[84:85], v[144:145], s[50:51]
	v_fma_f64 v[86:87], v[116:117], s[44:45], v[98:99]
	v_add_f64 v[76:77], v[90:91], v[82:83]
	v_fma_f64 v[90:91], v[130:131], s[6:7], v[238:239]
	v_mul_f64 v[236:237], v[110:111], s[44:45]
	v_add_f64 v[88:89], v[96:97], v[88:89]
	v_add_f64 v[82:83], v[102:103], v[80:81]
	v_mul_f64 v[80:81], v[132:133], s[30:31]
	v_fma_f64 v[96:97], v[118:119], s[4:5], v[84:85]
	v_add_f64 v[86:87], v[10:11], v[86:87]
	v_fma_f64 v[94:95], v[138:139], s[50:51], v[94:95]
	v_mul_f64 v[102:103], v[114:115], s[4:5]
	v_fma_f64 v[238:239], v[108:109], s[52:53], v[236:237]
	v_add_f64 v[88:89], v[90:91], v[88:89]
	v_fma_f64 v[90:91], v[154:155], s[48:49], v[92:93]
	v_mul_f64 v[92:93], v[140:141], s[46:47]
	v_fma_f64 v[240:241], v[122:123], s[38:39], v[80:81]
	v_add_f64 v[86:87], v[96:97], v[86:87]
	v_mul_f64 v[96:97], v[124:125], s[38:39]
	v_fma_f64 v[242:243], v[112:113], s[2:3], v[102:103]
	v_add_f64 v[238:239], v[8:9], v[238:239]
	v_add_f64 v[88:89], v[94:95], v[88:89]
	v_fma_f64 v[94:95], v[160:161], s[0:1], v[100:101]
	v_mul_f64 v[100:101], v[148:149], s[34:35]
	v_fma_f64 v[244:245], v[128:129], s[10:11], v[92:93]
	v_add_f64 v[86:87], v[240:241], v[86:87]
	v_mul_f64 v[240:241], v[134:135], s[10:11]
	v_fma_f64 v[246:247], v[120:121], s[0:1], v[96:97]
	v_add_f64 v[238:239], v[242:243], v[238:239]
	v_add_f64 v[88:89], v[90:91], v[88:89]
	v_fma_f64 v[90:91], v[116:117], s[44:45], -v[98:99]
	v_mul_f64 v[98:99], v[150:151], s[14:15]
	v_fma_f64 v[242:243], v[136:137], s[42:43], v[100:101]
	v_add_f64 v[86:87], v[244:245], v[86:87]
	v_mul_f64 v[244:245], v[146:147], s[42:43]
	v_fma_f64 v[248:249], v[126:127], s[6:7], v[240:241]
	v_add_f64 v[238:239], v[246:247], v[238:239]
	v_fma_f64 v[84:85], v[118:119], s[4:5], -v[84:85]
	v_add_f64 v[90:91], v[10:11], v[90:91]
	v_fma_f64 v[236:237], v[108:109], s[40:41], v[236:237]
	v_fma_f64 v[250:251], v[152:153], s[18:19], v[98:99]
	v_add_f64 v[86:87], v[242:243], v[86:87]
	v_mul_f64 v[242:243], v[158:159], s[18:19]
	v_fma_f64 v[80:81], v[122:123], s[38:39], -v[80:81]
	v_add_f64 v[238:239], v[248:249], v[238:239]
	v_fma_f64 v[248:249], v[130:131], s[28:29], v[244:245]
	v_add_f64 v[84:85], v[84:85], v[90:91]
	v_fma_f64 v[90:91], v[112:113], s[50:51], v[102:103]
	v_add_f64 v[102:103], v[8:9], v[236:237]
	v_mul_f64 v[236:237], v[166:167], s[24:25]
	v_add_f64 v[86:87], v[250:251], v[86:87]
	v_fma_f64 v[250:251], v[138:139], s[16:17], v[242:243]
	v_fma_f64 v[96:97], v[120:121], s[30:31], v[96:97]
	v_add_f64 v[238:239], v[248:249], v[238:239]
	v_mul_f64 v[248:249], v[164:165], s[26:27]
	v_add_f64 v[80:81], v[80:81], v[84:85]
	v_add_f64 v[90:91], v[90:91], v[102:103]
	v_fma_f64 v[84:85], v[128:129], s[10:11], -v[92:93]
	v_mul_f64 v[246:247], v[174:175], s[48:49]
	v_fma_f64 v[102:103], v[156:157], s[26:27], v[236:237]
	v_mul_f64 v[252:253], v[176:177], s[22:23]
	v_add_f64 v[92:93], v[250:251], v[238:239]
	v_fma_f64 v[238:239], v[154:155], s[54:55], v[248:249]
	v_fma_f64 v[240:241], v[126:127], s[46:47], v[240:241]
	v_add_f64 v[90:91], v[96:97], v[90:91]
	v_fma_f64 v[100:101], v[136:137], s[42:43], -v[100:101]
	v_add_f64 v[84:85], v[84:85], v[80:81]
	v_fma_f64 v[96:97], v[162:163], s[22:23], v[246:247]
	v_add_f64 v[86:87], v[102:103], v[86:87]
	v_fma_f64 v[102:103], v[160:161], s[20:21], v[252:253]
	;; [unrolled: 2-line block ×3, first 2 shown]
	v_add_f64 v[90:91], v[240:241], v[90:91]
	v_add_f64 v[80:81], v[94:95], v[88:89]
	v_fma_f64 v[88:89], v[152:153], s[18:19], -v[98:99]
	v_mul_f64 v[94:95], v[142:143], s[6:7]
	v_add_f64 v[98:99], v[100:101], v[84:85]
	v_add_f64 v[86:87], v[96:97], v[86:87]
	;; [unrolled: 1-line block ×3, first 2 shown]
	v_fma_f64 v[92:93], v[138:139], s[14:15], v[242:243]
	v_add_f64 v[90:91], v[238:239], v[90:91]
	v_fma_f64 v[96:97], v[156:157], s[26:27], -v[236:237]
	v_mul_f64 v[100:101], v[144:145], s[20:21]
	v_fma_f64 v[102:103], v[116:117], s[10:11], v[94:95]
	v_add_f64 v[88:89], v[88:89], v[98:99]
	v_mul_f64 v[236:237], v[110:111], s[10:11]
	v_fma_f64 v[238:239], v[154:155], s[24:25], v[248:249]
	v_fma_f64 v[98:99], v[162:163], s[22:23], -v[246:247]
	v_add_f64 v[90:91], v[92:93], v[90:91]
	v_mul_f64 v[92:93], v[132:133], s[34:35]
	v_fma_f64 v[240:241], v[118:119], s[22:23], v[100:101]
	v_add_f64 v[102:103], v[10:11], v[102:103]
	v_add_f64 v[88:89], v[96:97], v[88:89]
	v_mul_f64 v[96:97], v[114:115], s[22:23]
	v_fma_f64 v[242:243], v[108:109], s[46:47], v[236:237]
	v_fma_f64 v[244:245], v[160:161], s[48:49], v[252:253]
	v_add_f64 v[238:239], v[238:239], v[90:91]
	v_mul_f64 v[246:247], v[140:141], s[40:41]
	v_fma_f64 v[248:249], v[122:123], s[42:43], v[92:93]
	v_add_f64 v[102:103], v[240:241], v[102:103]
	v_mul_f64 v[240:241], v[124:125], s[42:43]
	v_fma_f64 v[250:251], v[112:113], s[48:49], v[96:97]
	v_add_f64 v[242:243], v[8:9], v[242:243]
	v_add_f64 v[90:91], v[98:99], v[88:89]
	;; [unrolled: 1-line block ×3, first 2 shown]
	v_fma_f64 v[94:95], v[116:117], s[10:11], -v[94:95]
	v_mul_f64 v[98:99], v[148:149], s[0:1]
	v_fma_f64 v[238:239], v[128:129], s[44:45], v[246:247]
	v_add_f64 v[102:103], v[248:249], v[102:103]
	v_fma_f64 v[244:245], v[120:121], s[28:29], v[240:241]
	v_add_f64 v[242:243], v[250:251], v[242:243]
	v_mul_f64 v[248:249], v[134:135], s[44:45]
	v_fma_f64 v[100:101], v[118:119], s[22:23], -v[100:101]
	v_add_f64 v[94:95], v[10:11], v[94:95]
	v_mul_f64 v[250:251], v[150:151], s[54:55]
	v_fma_f64 v[252:253], v[136:137], s[38:39], v[98:99]
	v_add_f64 v[102:103], v[238:239], v[102:103]
	v_mul_f64 v[238:239], v[146:147], s[38:39]
	v_add_f64 v[242:243], v[244:245], v[242:243]
	v_fma_f64 v[244:245], v[126:127], s[52:53], v[248:249]
	v_fma_f64 v[92:93], v[122:123], s[42:43], -v[92:93]
	v_add_f64 v[94:95], v[100:101], v[94:95]
	v_mul_f64 v[100:101], v[166:167], s[14:15]
	v_mul_f64 v[254:255], v[158:159], s[26:27]
	v_add_f64 v[102:103], v[252:253], v[102:103]
	v_fma_f64 v[252:253], v[152:153], s[26:27], v[250:251]
	v_fma_f64 v[96:97], v[112:113], s[20:21], v[96:97]
	v_add_f64 v[242:243], v[244:245], v[242:243]
	v_fma_f64 v[244:245], v[130:131], s[30:31], v[238:239]
	v_add_f64 v[92:93], v[92:93], v[94:95]
	v_fma_f64 v[94:95], v[128:129], s[44:45], -v[246:247]
	v_fma_f64 v[246:247], v[156:157], s[18:19], v[100:101]
	v_mul_f64 v[105:106], v[142:143], s[48:49]
	v_add_f64 v[102:103], v[252:253], v[102:103]
	v_mul_f64 v[252:253], v[164:165], s[18:19]
	v_fma_f64 v[238:239], v[130:131], s[0:1], v[238:239]
	v_add_f64 v[242:243], v[244:245], v[242:243]
	v_fma_f64 v[244:245], v[138:139], s[24:25], v[254:255]
	v_add_f64 v[92:93], v[94:95], v[92:93]
	v_fma_f64 v[94:95], v[136:137], s[38:39], -v[98:99]
	v_fma_f64 v[100:101], v[156:157], s[18:19], -v[100:101]
	v_add_f64 v[98:99], v[246:247], v[102:103]
	v_fma_f64 v[102:103], v[108:109], s[6:7], v[236:237]
	v_mul_f64 v[236:237], v[174:175], s[50:51]
	v_mul_f64 v[246:247], v[176:177], s[4:5]
	v_add_f64 v[242:243], v[244:245], v[242:243]
	v_fma_f64 v[244:245], v[154:155], s[16:17], v[252:253]
	v_add_f64 v[92:93], v[94:95], v[92:93]
	v_fma_f64 v[94:95], v[152:153], s[26:27], -v[250:251]
	buffer_store_dword v76, off, s[56:59], 0 offset:8 ; 4-byte Folded Spill
	s_nop 0
	buffer_store_dword v77, off, s[56:59], 0 offset:12 ; 4-byte Folded Spill
	buffer_store_dword v78, off, s[56:59], 0 offset:16 ; 4-byte Folded Spill
	;; [unrolled: 1-line block ×3, first 2 shown]
	v_add_f64 v[102:103], v[8:9], v[102:103]
	v_mul_f64 v[78:79], v[146:147], s[18:19]
	buffer_store_dword v168, off, s[56:59], 0 ; 4-byte Folded Spill
	s_nop 0
	buffer_store_dword v169, off, s[56:59], 0 offset:4 ; 4-byte Folded Spill
	v_mul_f64 v[168:169], v[158:159], s[38:39]
	v_add_f64 v[242:243], v[244:245], v[242:243]
	v_fma_f64 v[244:245], v[162:163], s[4:5], v[236:237]
	v_add_f64 v[250:251], v[94:95], v[92:93]
	v_fma_f64 v[92:93], v[160:161], s[2:3], v[246:247]
	;; [unrolled: 2-line block ×3, first 2 shown]
	v_fma_f64 v[236:237], v[162:163], s[4:5], -v[236:237]
	v_fma_f64 v[246:247], v[160:161], s[50:51], v[246:247]
	v_mul_f64 v[170:171], v[164:165], s[42:43]
	v_add_f64 v[94:95], v[244:245], v[98:99]
	v_fma_f64 v[98:99], v[120:121], s[34:35], v[240:241]
	v_mul_f64 v[240:241], v[144:145], s[52:53]
	v_add_f64 v[92:93], v[92:93], v[242:243]
	;; [unrolled: 3-line block ×3, first 2 shown]
	v_mul_f64 v[248:249], v[140:141], s[2:3]
	v_add_f64 v[100:101], v[100:101], v[250:251]
	v_add_f64 v[96:97], v[98:99], v[96:97]
	v_fma_f64 v[98:99], v[118:119], s[44:45], v[240:241]
	v_fma_f64 v[250:251], v[154:155], s[14:15], v[252:253]
	v_mul_f64 v[172:173], v[174:175], s[6:7]
	v_mul_f64 v[178:179], v[176:177], s[10:11]
	v_add_f64 v[14:15], v[14:15], v[10:11]
	v_add_f64 v[12:13], v[12:13], v[8:9]
	;; [unrolled: 1-line block ×3, first 2 shown]
	v_fma_f64 v[242:243], v[122:123], s[26:27], v[244:245]
	v_add_f64 v[98:99], v[98:99], v[102:103]
	v_fma_f64 v[102:103], v[138:139], s[54:55], v[254:255]
	v_add_f64 v[14:15], v[18:19], v[14:15]
	v_add_f64 v[12:13], v[16:17], v[12:13]
	v_mul_f64 v[18:19], v[140:141], s[30:31]
	v_add_f64 v[96:97], v[238:239], v[96:97]
	v_mul_f64 v[238:239], v[148:149], s[14:15]
	v_add_f64 v[98:99], v[242:243], v[98:99]
	v_fma_f64 v[242:243], v[128:129], s[4:5], v[248:249]
	v_add_f64 v[14:15], v[22:23], v[14:15]
	v_add_f64 v[12:13], v[20:21], v[12:13]
	v_mul_f64 v[20:21], v[148:149], s[48:49]
	v_add_f64 v[96:97], v[102:103], v[96:97]
	v_fma_f64 v[102:103], v[136:137], s[18:19], v[238:239]
	v_fma_f64 v[22:23], v[128:129], s[38:39], v[18:19]
	v_add_f64 v[98:99], v[242:243], v[98:99]
	v_mul_f64 v[242:243], v[150:151], s[0:1]
	v_add_f64 v[14:15], v[26:27], v[14:15]
	v_add_f64 v[12:13], v[24:25], v[12:13]
	v_mul_f64 v[24:25], v[150:151], s[6:7]
	v_add_f64 v[96:97], v[250:251], v[96:97]
	v_mul_f64 v[250:251], v[166:167], s[34:35]
	v_fma_f64 v[26:27], v[136:137], s[22:23], v[20:21]
	v_add_f64 v[102:103], v[102:103], v[98:99]
	v_fma_f64 v[252:253], v[152:153], s[38:39], v[242:243]
	v_add_f64 v[98:99], v[236:237], v[100:101]
	v_mul_f64 v[236:237], v[110:111], s[22:23]
	v_add_f64 v[14:15], v[30:31], v[14:15]
	v_add_f64 v[96:97], v[246:247], v[96:97]
	v_fma_f64 v[100:101], v[156:157], s[42:43], v[250:251]
	v_mul_f64 v[246:247], v[114:115], s[44:45]
	v_add_f64 v[28:29], v[28:29], v[12:13]
	v_add_f64 v[102:103], v[252:253], v[102:103]
	v_fma_f64 v[18:19], v[128:129], s[38:39], -v[18:19]
	v_fma_f64 v[20:21], v[136:137], s[22:23], -v[20:21]
	v_add_f64 v[14:15], v[74:75], v[14:15]
	v_mul_f64 v[30:31], v[166:167], s[40:41]
	v_fma_f64 v[252:253], v[112:113], s[40:41], v[246:247]
	v_add_f64 v[28:29], v[72:73], v[28:29]
	v_add_f64 v[100:101], v[100:101], v[102:103]
	v_fma_f64 v[102:103], v[108:109], s[20:21], v[236:237]
	v_add_f64 v[14:15], v[70:71], v[14:15]
	v_mul_f64 v[70:71], v[158:159], s[10:11]
	v_fma_f64 v[74:75], v[156:157], s[44:45], v[30:31]
	v_fma_f64 v[30:31], v[156:157], s[44:45], -v[30:31]
	v_add_f64 v[28:29], v[68:69], v[28:29]
	v_mul_f64 v[68:69], v[110:111], s[42:43]
	v_add_f64 v[102:103], v[8:9], v[102:103]
	v_add_f64 v[14:15], v[66:67], v[14:15]
	v_mul_f64 v[66:67], v[124:125], s[4:5]
	v_add_f64 v[28:29], v[64:65], v[28:29]
	v_fma_f64 v[64:65], v[108:109], s[34:35], v[68:69]
	v_add_f64 v[102:103], v[252:253], v[102:103]
	v_mul_f64 v[252:253], v[124:125], s[26:27]
	v_fma_f64 v[68:69], v[108:109], s[28:29], v[68:69]
	v_add_f64 v[14:15], v[62:63], v[14:15]
	v_add_f64 v[28:29], v[60:61], v[28:29]
	;; [unrolled: 1-line block ×3, first 2 shown]
	v_fma_f64 v[254:255], v[120:121], s[54:55], v[252:253]
	v_add_f64 v[14:15], v[58:59], v[14:15]
	v_fma_f64 v[58:59], v[120:121], s[50:51], v[66:67]
	v_add_f64 v[28:29], v[56:57], v[28:29]
	v_add_f64 v[102:103], v[254:255], v[102:103]
	v_mul_f64 v[254:255], v[134:135], s[4:5]
	v_add_f64 v[14:15], v[54:55], v[14:15]
	v_add_f64 v[28:29], v[52:53], v[28:29]
	v_fma_f64 v[76:77], v[126:127], s[50:51], v[254:255]
	v_add_f64 v[14:15], v[50:51], v[14:15]
	v_add_f64 v[28:29], v[48:49], v[28:29]
	;; [unrolled: 1-line block ×3, first 2 shown]
	v_fma_f64 v[102:103], v[130:131], s[16:17], v[78:79]
	v_fma_f64 v[78:79], v[130:131], s[14:15], v[78:79]
	v_add_f64 v[14:15], v[46:47], v[14:15]
	v_add_f64 v[28:29], v[44:45], v[28:29]
	v_fma_f64 v[44:45], v[138:139], s[46:47], v[70:71]
	v_add_f64 v[76:77], v[102:103], v[76:77]
	v_fma_f64 v[102:103], v[138:139], s[30:31], v[168:169]
	v_fma_f64 v[168:169], v[138:139], s[0:1], v[168:169]
	v_add_f64 v[14:15], v[34:35], v[14:15]
	v_add_f64 v[28:29], v[32:33], v[28:29]
	;; [unrolled: 1-line block ×3, first 2 shown]
	v_fma_f64 v[102:103], v[154:155], s[28:29], v[170:171]
	v_fma_f64 v[170:171], v[154:155], s[34:35], v[170:171]
	v_add_f64 v[14:15], v[38:39], v[14:15]
	v_add_f64 v[28:29], v[36:37], v[28:29]
	v_add_f64 v[76:77], v[102:103], v[76:77]
	v_fma_f64 v[102:103], v[162:163], s[10:11], v[172:173]
	v_fma_f64 v[172:173], v[162:163], s[10:11], -v[172:173]
	v_add_f64 v[102:103], v[102:103], v[100:101]
	v_fma_f64 v[100:101], v[160:161], s[46:47], v[178:179]
	v_fma_f64 v[178:179], v[160:161], s[6:7], v[178:179]
	v_add_f64 v[100:101], v[100:101], v[76:77]
	v_fma_f64 v[76:77], v[116:117], s[22:23], -v[105:106]
	v_fma_f64 v[105:106], v[118:119], s[44:45], -v[240:241]
	v_mul_f64 v[240:241], v[162:163], s[44:45]
	v_add_f64 v[76:77], v[10:11], v[76:77]
	v_add_f64 v[76:77], v[105:106], v[76:77]
	v_fma_f64 v[105:106], v[122:123], s[26:27], -v[244:245]
	v_add_f64 v[76:77], v[105:106], v[76:77]
	v_fma_f64 v[105:106], v[128:129], s[4:5], -v[248:249]
	;; [unrolled: 2-line block ×3, first 2 shown]
	v_fma_f64 v[238:239], v[156:157], s[42:43], -v[250:251]
	v_add_f64 v[76:77], v[105:106], v[76:77]
	v_fma_f64 v[105:106], v[108:109], s[48:49], v[236:237]
	v_fma_f64 v[236:237], v[112:113], s[52:53], v[246:247]
	v_add_f64 v[105:106], v[8:9], v[105:106]
	v_add_f64 v[105:106], v[236:237], v[105:106]
	v_fma_f64 v[236:237], v[120:121], s[24:25], v[252:253]
	v_add_f64 v[105:106], v[236:237], v[105:106]
	v_fma_f64 v[236:237], v[126:127], s[2:3], v[254:255]
	v_add_f64 v[105:106], v[236:237], v[105:106]
	v_fma_f64 v[236:237], v[152:153], s[38:39], -v[242:243]
	v_add_f64 v[78:79], v[78:79], v[105:106]
	v_mul_f64 v[105:106], v[116:117], s[38:39]
	v_add_f64 v[76:77], v[236:237], v[76:77]
	v_mul_f64 v[236:237], v[118:119], s[18:19]
	v_add_f64 v[78:79], v[168:169], v[78:79]
	v_add_f64 v[105:106], v[105:106], -v[232:233]
	v_mul_f64 v[232:233], v[122:123], s[22:23]
	v_add_f64 v[228:229], v[236:237], -v[228:229]
	v_add_f64 v[76:77], v[238:239], v[76:77]
	v_mul_f64 v[238:239], v[110:111], s[38:39]
	v_mul_f64 v[236:237], v[156:157], s[10:11]
	;; [unrolled: 1-line block ×3, first 2 shown]
	v_add_f64 v[78:79], v[170:171], v[78:79]
	v_add_f64 v[105:106], v[10:11], v[105:106]
	v_mul_f64 v[170:171], v[128:129], s[42:43]
	v_add_f64 v[230:231], v[232:233], -v[230:231]
	v_mul_f64 v[232:233], v[114:115], s[18:19]
	v_add_f64 v[218:219], v[218:219], v[238:239]
	v_mul_f64 v[238:239], v[116:117], s[4:5]
	v_add_f64 v[234:235], v[236:237], -v[234:235]
	v_mul_f64 v[236:237], v[136:137], s[4:5]
	v_add_f64 v[105:106], v[228:229], v[105:106]
	v_add_f64 v[170:171], v[170:171], -v[222:223]
	v_mul_f64 v[222:223], v[124:125], s[22:23]
	v_add_f64 v[214:215], v[214:215], v[232:233]
	v_add_f64 v[218:219], v[8:9], v[218:219]
	v_mul_f64 v[232:233], v[118:119], s[10:11]
	v_add_f64 v[182:183], v[238:239], -v[182:183]
	v_add_f64 v[226:227], v[236:237], -v[226:227]
	v_add_f64 v[105:106], v[230:231], v[105:106]
	v_mul_f64 v[230:231], v[152:153], s[44:45]
	v_mul_f64 v[236:237], v[134:135], s[42:43]
	v_add_f64 v[220:221], v[220:221], v[222:223]
	v_add_f64 v[214:215], v[214:215], v[218:219]
	v_mul_f64 v[218:219], v[122:123], s[18:19]
	v_add_f64 v[184:185], v[232:233], -v[184:185]
	v_add_f64 v[182:183], v[10:11], v[182:183]
	v_add_f64 v[105:106], v[170:171], v[105:106]
	v_add_f64 v[224:225], v[230:231], -v[224:225]
	v_mul_f64 v[230:231], v[146:147], s[4:5]
	v_add_f64 v[216:217], v[216:217], v[236:237]
	v_mul_f64 v[236:237], v[128:129], s[22:23]
	v_add_f64 v[186:187], v[218:219], -v[186:187]
	v_add_f64 v[214:215], v[220:221], v[214:215]
	v_add_f64 v[182:183], v[184:185], v[182:183]
	;; [unrolled: 1-line block ×3, first 2 shown]
	v_mul_f64 v[226:227], v[136:137], s[26:27]
	v_add_f64 v[210:211], v[210:211], v[230:231]
	v_mul_f64 v[230:231], v[158:159], s[44:45]
	v_mul_f64 v[232:233], v[156:157], s[38:39]
	v_add_f64 v[184:185], v[172:173], v[76:77]
	v_add_f64 v[214:215], v[216:217], v[214:215]
	;; [unrolled: 1-line block ×4, first 2 shown]
	v_mul_f64 v[216:217], v[152:153], s[42:43]
	v_add_f64 v[182:183], v[178:179], v[78:79]
	v_add_f64 v[208:209], v[208:209], v[230:231]
	v_mul_f64 v[230:231], v[162:163], s[26:27]
	v_add_f64 v[76:77], v[226:227], -v[192:193]
	v_add_f64 v[210:211], v[210:211], v[214:215]
	v_mul_f64 v[214:215], v[164:165], s[10:11]
	v_add_f64 v[105:106], v[234:235], v[105:106]
	v_add_f64 v[234:235], v[236:237], -v[188:189]
	v_mul_f64 v[78:79], v[142:143], s[54:55]
	v_add_f64 v[192:193], v[240:241], -v[202:203]
	v_add_f64 v[212:213], v[230:231], -v[212:213]
	v_mul_f64 v[228:229], v[114:115], s[10:11]
	v_add_f64 v[208:209], v[208:209], v[210:211]
	v_add_f64 v[206:207], v[206:207], v[214:215]
	v_mul_f64 v[222:223], v[124:125], s[18:19]
	v_mul_f64 v[230:231], v[176:177], s[26:27]
	v_fma_f64 v[202:203], v[116:117], s[26:27], v[78:79]
	v_mul_f64 v[170:171], v[134:135], s[22:23]
	v_add_f64 v[188:189], v[212:213], v[105:106]
	v_add_f64 v[105:106], v[234:235], v[186:187]
	buffer_load_dword v186, off, s[56:59], 0 offset:48 ; 4-byte Folded Reload
	buffer_load_dword v187, off, s[56:59], 0 offset:52 ; 4-byte Folded Reload
	v_add_f64 v[178:179], v[206:207], v[208:209]
	v_mul_f64 v[206:207], v[132:133], s[6:7]
	v_add_f64 v[172:173], v[204:205], v[230:231]
	v_add_f64 v[202:203], v[10:11], v[202:203]
	v_mul_f64 v[204:205], v[110:111], s[26:27]
	v_mul_f64 v[220:221], v[146:147], s[26:27]
	v_add_f64 v[76:77], v[76:77], v[105:106]
	v_add_f64 v[105:106], v[232:233], -v[200:201]
	buffer_load_dword v200, off, s[56:59], 0 offset:40 ; 4-byte Folded Reload
	buffer_load_dword v201, off, s[56:59], 0 offset:44 ; 4-byte Folded Reload
	v_mul_f64 v[210:211], v[114:115], s[38:39]
	v_fma_f64 v[214:215], v[122:123], s[10:11], v[206:207]
	v_mul_f64 v[238:239], v[158:159], s[42:43]
	v_fma_f64 v[212:213], v[108:109], s[24:25], v[204:205]
	v_add_f64 v[180:181], v[180:181], v[220:221]
	v_mul_f64 v[224:225], v[164:165], s[38:39]
	v_mul_f64 v[218:219], v[176:177], s[44:45]
	v_fma_f64 v[78:79], v[116:117], s[26:27], -v[78:79]
	v_mul_f64 v[142:143], v[142:143], s[34:35]
	v_mul_f64 v[132:133], v[132:133], s[2:3]
	v_add_f64 v[190:191], v[190:191], v[238:239]
	v_add_f64 v[212:213], v[8:9], v[212:213]
	v_mul_f64 v[114:115], v[114:115], s[26:27]
	v_mul_f64 v[110:111], v[134:135], s[38:39]
	v_add_f64 v[196:197], v[196:197], v[218:219]
	v_add_f64 v[78:79], v[10:11], v[78:79]
	v_fma_f64 v[64:65], v[122:123], s[4:5], -v[132:133]
	v_fma_f64 v[62:63], v[112:113], s[24:25], v[114:115]
	v_fma_f64 v[54:55], v[126:127], s[0:1], v[110:111]
	s_waitcnt vmcnt(2)
	v_add_f64 v[168:169], v[186:187], v[168:169]
	v_add_f64 v[186:187], v[216:217], -v[198:199]
	v_mul_f64 v[198:199], v[144:145], s[30:31]
	v_fma_f64 v[216:217], v[112:113], s[0:1], v[210:211]
	v_mul_f64 v[144:145], v[144:145], s[54:55]
	s_movk_i32 s0, 0x110
	v_add_f64 v[168:169], v[8:9], v[168:169]
	v_add_f64 v[76:77], v[186:187], v[76:77]
	v_fma_f64 v[208:209], v[118:119], s[38:39], v[198:199]
	buffer_load_dword v186, off, s[56:59], 0 offset:32 ; 4-byte Folded Reload
	buffer_load_dword v187, off, s[56:59], 0 offset:36 ; 4-byte Folded Reload
	s_waitcnt vmcnt(2)
	v_add_f64 v[200:201], v[200:201], v[228:229]
	v_add_f64 v[212:213], v[216:217], v[212:213]
	v_mul_f64 v[216:217], v[150:151], s[20:21]
	v_add_f64 v[76:77], v[105:106], v[76:77]
	v_add_f64 v[202:203], v[208:209], v[202:203]
	buffer_load_dword v208, off, s[56:59], 0 offset:24 ; 4-byte Folded Reload
	buffer_load_dword v209, off, s[56:59], 0 offset:28 ; 4-byte Folded Reload
	v_add_f64 v[168:169], v[200:201], v[168:169]
	v_mul_f64 v[200:201], v[140:141], s[14:15]
	v_mul_f64 v[105:106], v[164:165], s[4:5]
	v_fma_f64 v[140:141], v[122:123], s[4:5], v[132:133]
	v_add_f64 v[202:203], v[214:215], v[202:203]
	v_mul_f64 v[214:215], v[134:135], s[18:19]
	v_fma_f64 v[228:229], v[154:155], s[2:3], v[105:106]
	v_fma_f64 v[105:106], v[154:155], s[50:51], v[105:106]
	;; [unrolled: 1-line block ×3, first 2 shown]
	s_waitcnt vmcnt(2)
	v_add_f64 v[186:187], v[186:187], v[222:223]
	v_mul_f64 v[222:223], v[148:149], s[52:53]
	s_waitcnt vmcnt(0)
	v_add_f64 v[170:171], v[208:209], v[170:171]
	v_add_f64 v[168:169], v[186:187], v[168:169]
	v_mul_f64 v[208:209], v[124:125], s[10:11]
	v_fma_f64 v[186:187], v[128:129], s[18:19], v[200:201]
	v_fma_f64 v[200:201], v[128:129], s[18:19], -v[200:201]
	v_add_f64 v[168:169], v[170:171], v[168:169]
	v_fma_f64 v[220:221], v[120:121], s[46:47], v[208:209]
	v_fma_f64 v[170:171], v[136:137], s[44:45], v[222:223]
	v_add_f64 v[186:187], v[186:187], v[202:203]
	v_mul_f64 v[202:203], v[146:147], s[44:45]
	v_add_f64 v[168:169], v[180:181], v[168:169]
	v_add_f64 v[212:213], v[220:221], v[212:213]
	v_mul_f64 v[180:181], v[166:167], s[50:51]
	v_fma_f64 v[220:221], v[152:153], s[22:23], v[216:217]
	v_add_f64 v[170:171], v[170:171], v[186:187]
	v_add_f64 v[186:187], v[194:195], v[224:225]
	v_fma_f64 v[224:225], v[130:131], s[40:41], v[202:203]
	v_mul_f64 v[194:195], v[158:159], s[22:23]
	v_add_f64 v[168:169], v[190:191], v[168:169]
	v_add_f64 v[212:213], v[226:227], v[212:213]
	v_fma_f64 v[226:227], v[156:157], s[4:5], v[180:181]
	v_mul_f64 v[190:191], v[174:175], s[28:29]
	v_add_f64 v[170:171], v[220:221], v[170:171]
	v_fma_f64 v[180:181], v[156:157], s[4:5], -v[180:181]
	v_fma_f64 v[220:221], v[138:139], s[48:49], v[194:195]
	v_add_f64 v[168:169], v[186:187], v[168:169]
	v_add_f64 v[212:213], v[224:225], v[212:213]
	;; [unrolled: 1-line block ×3, first 2 shown]
	v_fma_f64 v[218:219], v[162:163], s[42:43], v[190:191]
	v_add_f64 v[224:225], v[226:227], v[170:171]
	v_add_f64 v[170:171], v[192:193], v[76:77]
	v_fma_f64 v[76:77], v[118:119], s[38:39], -v[198:199]
	v_fma_f64 v[198:199], v[122:123], s[10:11], -v[206:207]
	v_add_f64 v[168:169], v[196:197], v[168:169]
	v_fma_f64 v[196:197], v[108:109], s[54:55], v[204:205]
	v_fma_f64 v[206:207], v[112:113], s[30:31], v[210:211]
	v_fma_f64 v[204:205], v[136:137], s[44:45], -v[222:223]
	v_fma_f64 v[210:211], v[116:117], s[42:43], v[142:143]
	v_fma_f64 v[116:117], v[116:117], s[42:43], -v[142:143]
	v_add_f64 v[76:77], v[76:77], v[78:79]
	v_fma_f64 v[78:79], v[152:153], s[22:23], -v[216:217]
	v_fma_f64 v[107:108], v[118:119], s[26:27], -v[144:145]
	v_add_f64 v[196:197], v[8:9], v[196:197]
	v_add_f64 v[8:9], v[8:9], v[68:69]
	v_fma_f64 v[68:69], v[120:121], s[2:3], v[66:67]
	v_fma_f64 v[190:191], v[162:163], s[42:43], -v[190:191]
	v_mul_f64 v[226:227], v[176:177], s[42:43]
	v_add_f64 v[76:77], v[198:199], v[76:77]
	v_fma_f64 v[198:199], v[120:121], s[6:7], v[208:209]
	v_add_f64 v[208:209], v[10:11], v[210:211]
	v_add_f64 v[196:197], v[206:207], v[196:197]
	v_fma_f64 v[206:207], v[118:119], s[26:27], v[144:145]
	v_add_f64 v[10:11], v[10:11], v[116:117]
	v_fma_f64 v[116:117], v[112:113], s[54:55], v[114:115]
	v_add_f64 v[8:9], v[62:63], v[8:9]
	v_add_f64 v[76:77], v[200:201], v[76:77]
	v_fma_f64 v[200:201], v[126:127], s[14:15], v[214:215]
	v_add_f64 v[212:213], v[220:221], v[212:213]
	;; [unrolled: 3-line block ×3, first 2 shown]
	v_add_f64 v[10:11], v[107:108], v[10:11]
	v_add_f64 v[56:57], v[116:117], v[60:61]
	;; [unrolled: 1-line block ×3, first 2 shown]
	v_fma_f64 v[60:61], v[126:127], s[30:31], v[110:111]
	v_add_f64 v[8:9], v[58:59], v[8:9]
	v_add_f64 v[16:17], v[200:201], v[16:17]
	v_fma_f64 v[172:173], v[160:161], s[34:35], v[226:227]
	v_add_f64 v[140:141], v[140:141], v[196:197]
	v_add_f64 v[10:11], v[64:65], v[10:11]
	;; [unrolled: 1-line block ×4, first 2 shown]
	v_fma_f64 v[78:79], v[138:139], s[20:21], v[194:195]
	v_add_f64 v[8:9], v[54:55], v[8:9]
	v_add_f64 v[16:17], v[198:199], v[16:17]
	;; [unrolled: 1-line block ×9, first 2 shown]
	v_fma_f64 v[78:79], v[152:153], s[10:11], v[24:25]
	v_add_f64 v[22:23], v[26:27], v[22:23]
	v_fma_f64 v[24:25], v[152:153], s[10:11], -v[24:25]
	v_add_f64 v[10:11], v[20:21], v[10:11]
	v_fma_f64 v[20:21], v[138:139], s[6:7], v[70:71]
	v_add_f64 v[12:13], v[190:191], v[76:77]
	v_mul_f64 v[76:77], v[176:177], s[18:19]
	v_add_f64 v[72:73], v[105:106], v[16:17]
	v_mul_f64 v[105:106], v[146:147], s[22:23]
	v_add_f64 v[22:23], v[78:79], v[22:23]
	v_mul_f64 v[78:79], v[164:165], s[44:45]
	v_mul_f64 v[16:17], v[174:175], s[14:15]
	v_add_f64 v[10:11], v[24:25], v[10:11]
	v_fma_f64 v[26:27], v[160:161], s[28:29], v[226:227]
	v_fma_f64 v[36:37], v[160:161], s[16:17], v[76:77]
	v_add_f64 v[176:177], v[172:173], v[192:193]
	v_fma_f64 v[18:19], v[130:131], s[48:49], v[105:106]
	v_fma_f64 v[50:51], v[130:131], s[20:21], v[105:106]
	;; [unrolled: 1-line block ×3, first 2 shown]
	v_fma_f64 v[32:33], v[162:163], s[18:19], -v[16:17]
	v_add_f64 v[10:11], v[30:31], v[10:11]
	v_fma_f64 v[30:31], v[160:161], s[14:15], v[76:77]
	v_fma_f64 v[34:35], v[162:163], s[18:19], v[16:17]
	v_add_f64 v[22:23], v[74:75], v[22:23]
	v_add_f64 v[18:19], v[18:19], v[48:49]
	;; [unrolled: 1-line block ×6, first 2 shown]
	v_fma_f64 v[20:21], v[154:155], s[52:53], v[78:79]
	v_add_f64 v[8:9], v[44:45], v[8:9]
	v_add_f64 v[24:25], v[24:25], v[18:19]
	;; [unrolled: 1-line block ×8, first 2 shown]
	v_mad_u32_u24 v8, v104, s0, 0
	ds_write_b128 v8, v[18:21]
	ds_write_b128 v8, v[14:17] offset:16
	ds_write_b128 v8, v[10:13] offset:32
	;; [unrolled: 1-line block ×3, first 2 shown]
	buffer_load_dword v168, off, s[56:59], 0 ; 4-byte Folded Reload
	buffer_load_dword v169, off, s[56:59], 0 offset:4 ; 4-byte Folded Reload
	ds_write_b128 v8, v[186:189] offset:64
	ds_write_b128 v8, v[182:185] offset:80
	ds_write_b128 v8, v[96:99] offset:96
	ds_write_b128 v8, v[88:91] offset:112
	ds_write_b128 v8, v[80:83] offset:128
	buffer_load_dword v9, off, s[56:59], 0 offset:8 ; 4-byte Folded Reload
	buffer_load_dword v10, off, s[56:59], 0 offset:12 ; 4-byte Folded Reload
	;; [unrolled: 1-line block ×4, first 2 shown]
	s_waitcnt vmcnt(0)
	ds_write_b128 v8, v[9:12] offset:144
	ds_write_b128 v8, v[84:87] offset:160
	;; [unrolled: 1-line block ×8, first 2 shown]
.LBB0_13:
	s_or_b64 exec, exec, s[36:37]
	s_movk_i32 s0, 0xf1
	v_mul_lo_u16_sdwa v8, v104, s0 dst_sel:DWORD dst_unused:UNUSED_PAD src0_sel:BYTE_0 src1_sel:DWORD
	v_lshrrev_b16_e32 v20, 12, v8
	v_mul_lo_u16_e32 v8, 17, v20
	v_sub_u16_e32 v21, v104, v8
	v_mov_b32_e32 v8, 12
	v_mul_u32_u24_sdwa v8, v21, v8 dst_sel:DWORD dst_unused:UNUSED_PAD src0_sel:BYTE_0 src1_sel:DWORD
	v_lshlrev_b32_e32 v58, 4, v8
	s_waitcnt lgkmcnt(0)
	; wave barrier
	s_waitcnt lgkmcnt(0)
	global_load_dwordx4 v[8:11], v58, s[8:9]
	global_load_dwordx4 v[12:15], v58, s[8:9] offset:16
	global_load_dwordx4 v[16:19], v58, s[8:9] offset:32
	;; [unrolled: 1-line block ×11, first 2 shown]
	v_lshl_add_u32 v60, v104, 4, 0
	ds_read_b128 v[61:64], v60
	ds_read_b128 v[65:68], v60 offset:816
	ds_read_b128 v[69:72], v60 offset:1632
	;; [unrolled: 1-line block ×12, first 2 shown]
	s_mov_b32 s26, 0x4267c47c
	s_mov_b32 s20, 0xe00740e9
	;; [unrolled: 1-line block ×36, first 2 shown]
	v_mul_u32_u24_e32 v20, 0xdd0, v20
	s_waitcnt lgkmcnt(0)
	; wave barrier
	s_waitcnt vmcnt(11) lgkmcnt(0)
	v_mul_f64 v[58:59], v[67:68], v[10:11]
	v_mul_f64 v[10:11], v[65:66], v[10:11]
	s_waitcnt vmcnt(10)
	v_mul_f64 v[101:102], v[71:72], v[14:15]
	v_mul_f64 v[14:15], v[69:70], v[14:15]
	s_waitcnt vmcnt(9)
	;; [unrolled: 3-line block ×3, first 2 shown]
	v_mul_f64 v[120:121], v[79:80], v[24:25]
	v_mul_f64 v[24:25], v[77:78], v[24:25]
	v_fma_f64 v[58:59], v[65:66], v[8:9], v[58:59]
	v_fma_f64 v[65:66], v[67:68], v[8:9], -v[10:11]
	v_fma_f64 v[67:68], v[69:70], v[12:13], v[101:102]
	v_fma_f64 v[69:70], v[71:72], v[12:13], -v[14:15]
	v_fma_f64 v[71:72], v[73:74], v[16:17], v[105:106]
	s_waitcnt vmcnt(7)
	v_mul_f64 v[122:123], v[83:84], v[28:29]
	v_fma_f64 v[73:74], v[75:76], v[16:17], -v[18:19]
	v_fma_f64 v[75:76], v[77:78], v[22:23], v[120:121]
	v_add_f64 v[12:13], v[61:62], v[58:59]
	v_add_f64 v[14:15], v[63:64], v[65:66]
	v_mul_f64 v[28:29], v[81:82], v[28:29]
	s_waitcnt vmcnt(6)
	v_mul_f64 v[124:125], v[87:88], v[32:33]
	v_fma_f64 v[22:23], v[79:80], v[22:23], -v[24:25]
	v_fma_f64 v[24:25], v[81:82], v[26:27], v[122:123]
	v_mul_f64 v[32:33], v[85:86], v[32:33]
	s_waitcnt vmcnt(5)
	v_mul_f64 v[126:127], v[91:92], v[36:37]
	v_add_f64 v[12:13], v[12:13], v[67:68]
	v_add_f64 v[14:15], v[14:15], v[69:70]
	v_fma_f64 v[26:27], v[83:84], v[26:27], -v[28:29]
	v_fma_f64 v[8:9], v[85:86], v[30:31], v[124:125]
	v_mul_f64 v[36:37], v[89:90], v[36:37]
	s_waitcnt vmcnt(4)
	v_mul_f64 v[128:129], v[95:96], v[40:41]
	v_fma_f64 v[16:17], v[87:88], v[30:31], -v[32:33]
	v_fma_f64 v[10:11], v[89:90], v[34:35], v[126:127]
	v_add_f64 v[12:13], v[12:13], v[71:72]
	v_add_f64 v[14:15], v[14:15], v[73:74]
	v_mul_f64 v[40:41], v[93:94], v[40:41]
	s_waitcnt vmcnt(3)
	v_mul_f64 v[130:131], v[99:100], v[44:45]
	v_fma_f64 v[18:19], v[91:92], v[34:35], -v[36:37]
	v_fma_f64 v[28:29], v[93:94], v[38:39], v[128:129]
	v_mul_f64 v[44:45], v[97:98], v[44:45]
	s_waitcnt vmcnt(2)
	v_mul_f64 v[132:133], v[110:111], v[48:49]
	v_add_f64 v[12:13], v[12:13], v[75:76]
	v_add_f64 v[14:15], v[14:15], v[22:23]
	v_fma_f64 v[30:31], v[95:96], v[38:39], -v[40:41]
	v_fma_f64 v[34:35], v[97:98], v[42:43], v[130:131]
	v_mul_f64 v[48:49], v[108:109], v[48:49]
	s_waitcnt vmcnt(1)
	v_mul_f64 v[134:135], v[114:115], v[52:53]
	s_waitcnt vmcnt(0)
	v_mul_f64 v[136:137], v[118:119], v[56:57]
	v_mul_f64 v[56:57], v[116:117], v[56:57]
	v_add_f64 v[12:13], v[12:13], v[24:25]
	v_add_f64 v[14:15], v[14:15], v[26:27]
	v_fma_f64 v[36:37], v[99:100], v[42:43], -v[44:45]
	v_fma_f64 v[38:39], v[108:109], v[46:47], v[132:133]
	v_mul_f64 v[52:53], v[112:113], v[52:53]
	v_fma_f64 v[42:43], v[110:111], v[46:47], -v[48:49]
	v_fma_f64 v[48:49], v[112:113], v[50:51], v[134:135]
	v_fma_f64 v[32:33], v[118:119], v[54:55], -v[56:57]
	v_add_f64 v[12:13], v[12:13], v[8:9]
	v_add_f64 v[14:15], v[14:15], v[16:17]
	v_fma_f64 v[40:41], v[116:117], v[54:55], v[136:137]
	v_fma_f64 v[50:51], v[114:115], v[50:51], -v[52:53]
	v_add_f64 v[44:45], v[65:66], -v[32:33]
	v_add_f64 v[12:13], v[12:13], v[10:11]
	v_add_f64 v[14:15], v[14:15], v[18:19]
	;; [unrolled: 1-line block ×4, first 2 shown]
	v_add_f64 v[54:55], v[58:59], -v[40:41]
	v_mul_f64 v[56:57], v[44:45], s[26:27]
	v_add_f64 v[12:13], v[12:13], v[28:29]
	v_add_f64 v[14:15], v[14:15], v[30:31]
	v_mul_f64 v[58:59], v[46:47], s[20:21]
	v_mul_f64 v[65:66], v[44:45], s[6:7]
	;; [unrolled: 1-line block ×6, first 2 shown]
	v_add_f64 v[12:13], v[12:13], v[34:35]
	v_add_f64 v[14:15], v[14:15], v[36:37]
	v_mul_f64 v[85:86], v[46:47], s[18:19]
	v_mul_f64 v[87:88], v[44:45], s[28:29]
	;; [unrolled: 1-line block ×5, first 2 shown]
	v_fma_f64 v[91:92], v[52:53], s[20:21], v[56:57]
	v_add_f64 v[12:13], v[12:13], v[38:39]
	v_add_f64 v[14:15], v[14:15], v[42:43]
	v_fma_f64 v[93:94], v[54:55], s[24:25], v[58:59]
	v_fma_f64 v[56:57], v[52:53], s[20:21], -v[56:57]
	v_fma_f64 v[58:59], v[54:55], s[26:27], v[58:59]
	v_fma_f64 v[95:96], v[52:53], s[10:11], v[65:66]
	;; [unrolled: 1-line block ×3, first 2 shown]
	v_fma_f64 v[65:66], v[52:53], s[10:11], -v[65:66]
	v_add_f64 v[12:13], v[12:13], v[48:49]
	v_add_f64 v[14:15], v[14:15], v[50:51]
	v_fma_f64 v[77:78], v[54:55], s[6:7], v[77:78]
	v_fma_f64 v[99:100], v[52:53], s[2:3], v[79:80]
	;; [unrolled: 1-line block ×3, first 2 shown]
	v_fma_f64 v[79:80], v[52:53], s[2:3], -v[79:80]
	v_fma_f64 v[81:82], v[54:55], s[0:1], v[81:82]
	v_fma_f64 v[105:106], v[52:53], s[18:19], v[83:84]
	v_add_f64 v[12:13], v[12:13], v[40:41]
	v_add_f64 v[40:41], v[69:70], v[50:51]
	v_fma_f64 v[107:108], v[54:55], s[22:23], v[85:86]
	v_fma_f64 v[83:84], v[52:53], s[18:19], -v[83:84]
	v_fma_f64 v[85:86], v[54:55], s[14:15], v[85:86]
	v_fma_f64 v[109:110], v[52:53], s[30:31], v[87:88]
	;; [unrolled: 1-line block ×3, first 2 shown]
	v_fma_f64 v[87:88], v[52:53], s[30:31], -v[87:88]
	v_add_f64 v[14:15], v[14:15], v[32:33]
	v_fma_f64 v[32:33], v[54:55], s[28:29], v[89:90]
	v_add_f64 v[50:51], v[69:70], -v[50:51]
	v_fma_f64 v[69:70], v[52:53], s[38:39], v[44:45]
	v_add_f64 v[89:90], v[67:68], v[48:49]
	v_add_f64 v[48:49], v[67:68], -v[48:49]
	v_mul_f64 v[113:114], v[40:41], s[10:11]
	v_fma_f64 v[115:116], v[54:55], s[40:41], v[46:47]
	v_fma_f64 v[44:45], v[52:53], s[38:39], -v[44:45]
	v_fma_f64 v[46:47], v[54:55], s[36:37], v[46:47]
	v_add_f64 v[91:92], v[61:62], v[91:92]
	v_add_f64 v[93:94], v[63:64], v[93:94]
	;; [unrolled: 1-line block ×18, first 2 shown]
	v_mul_f64 v[67:68], v[50:51], s[6:7]
	v_add_f64 v[52:53], v[61:62], v[87:88]
	v_add_f64 v[32:33], v[63:64], v[32:33]
	v_fma_f64 v[87:88], v[48:49], s[16:17], v[113:114]
	v_add_f64 v[69:70], v[61:62], v[69:70]
	v_add_f64 v[115:116], v[63:64], v[115:116]
	;; [unrolled: 1-line block ×4, first 2 shown]
	v_mul_f64 v[61:62], v[50:51], s[14:15]
	v_mul_f64 v[63:64], v[40:41], s[18:19]
	v_fma_f64 v[54:55], v[89:90], s[10:11], v[67:68]
	v_add_f64 v[87:88], v[87:88], v[93:94]
	v_fma_f64 v[67:68], v[89:90], s[10:11], -v[67:68]
	v_mul_f64 v[93:94], v[50:51], s[36:37]
	v_fma_f64 v[117:118], v[89:90], s[18:19], v[61:62]
	v_fma_f64 v[119:120], v[48:49], s[22:23], v[63:64]
	v_fma_f64 v[61:62], v[89:90], s[18:19], -v[61:62]
	v_fma_f64 v[63:64], v[48:49], s[14:15], v[63:64]
	v_add_f64 v[54:55], v[54:55], v[91:92]
	v_fma_f64 v[91:92], v[48:49], s[6:7], v[113:114]
	v_mul_f64 v[113:114], v[40:41], s[38:39]
	v_add_f64 v[56:57], v[67:68], v[56:57]
	v_fma_f64 v[67:68], v[89:90], s[38:39], v[93:94]
	v_add_f64 v[95:96], v[117:118], v[95:96]
	v_add_f64 v[61:62], v[61:62], v[65:66]
	;; [unrolled: 1-line block ×3, first 2 shown]
	v_mul_f64 v[65:66], v[50:51], s[34:35]
	v_mul_f64 v[77:78], v[40:41], s[30:31]
	v_add_f64 v[58:59], v[91:92], v[58:59]
	v_fma_f64 v[91:92], v[48:49], s[40:41], v[113:114]
	v_add_f64 v[97:98], v[119:120], v[97:98]
	v_add_f64 v[67:68], v[67:68], v[99:100]
	v_mul_f64 v[99:100], v[50:51], s[4:5]
	v_fma_f64 v[93:94], v[89:90], s[38:39], -v[93:94]
	v_fma_f64 v[117:118], v[89:90], s[30:31], v[65:66]
	v_fma_f64 v[119:120], v[48:49], s[28:29], v[77:78]
	v_fma_f64 v[65:66], v[89:90], s[30:31], -v[65:66]
	v_add_f64 v[91:92], v[91:92], v[101:102]
	v_mul_f64 v[101:102], v[40:41], s[2:3]
	v_fma_f64 v[113:114], v[48:49], s[36:37], v[113:114]
	v_fma_f64 v[121:122], v[89:90], s[2:3], v[99:100]
	v_add_f64 v[79:80], v[93:94], v[79:80]
	v_add_f64 v[93:94], v[117:118], v[105:106]
	;; [unrolled: 1-line block ×3, first 2 shown]
	v_add_f64 v[107:108], v[73:74], -v[42:43]
	v_add_f64 v[42:43], v[73:74], v[42:43]
	v_fma_f64 v[123:124], v[48:49], s[0:1], v[101:102]
	v_add_f64 v[65:66], v[65:66], v[83:84]
	v_add_f64 v[83:84], v[121:122], v[109:110]
	v_mul_f64 v[40:41], v[40:41], s[20:21]
	v_fma_f64 v[73:74], v[89:90], s[2:3], -v[99:100]
	v_fma_f64 v[99:100], v[48:49], s[4:5], v[101:102]
	v_add_f64 v[101:102], v[71:72], v[38:39]
	v_add_f64 v[38:39], v[71:72], -v[38:39]
	v_mul_f64 v[71:72], v[107:108], s[0:1]
	v_mul_f64 v[109:110], v[42:43], s[2:3]
	v_fma_f64 v[77:78], v[48:49], s[34:35], v[77:78]
	v_add_f64 v[81:82], v[113:114], v[81:82]
	v_mul_f64 v[50:51], v[50:51], s[24:25]
	v_fma_f64 v[113:114], v[48:49], s[26:27], v[40:41]
	v_fma_f64 v[40:41], v[48:49], s[24:25], v[40:41]
	v_add_f64 v[48:49], v[73:74], v[52:53]
	v_fma_f64 v[52:53], v[101:102], s[2:3], v[71:72]
	v_fma_f64 v[73:74], v[38:39], s[4:5], v[109:110]
	v_add_f64 v[77:78], v[77:78], v[85:86]
	v_add_f64 v[85:86], v[123:124], v[111:112]
	v_fma_f64 v[111:112], v[89:90], s[20:21], v[50:51]
	v_fma_f64 v[50:51], v[89:90], s[20:21], -v[50:51]
	v_add_f64 v[32:33], v[99:100], v[32:33]
	v_add_f64 v[40:41], v[40:41], v[46:47]
	v_mul_f64 v[46:47], v[107:108], s[36:37]
	v_add_f64 v[52:53], v[52:53], v[54:55]
	v_add_f64 v[54:55], v[73:74], v[87:88]
	v_fma_f64 v[71:72], v[101:102], s[2:3], -v[71:72]
	v_fma_f64 v[73:74], v[38:39], s[0:1], v[109:110]
	v_mul_f64 v[87:88], v[107:108], s[22:23]
	v_mul_f64 v[99:100], v[42:43], s[18:19]
	v_add_f64 v[44:45], v[50:51], v[44:45]
	v_mul_f64 v[50:51], v[42:43], s[38:39]
	v_fma_f64 v[109:110], v[101:102], s[38:39], v[46:47]
	v_fma_f64 v[46:47], v[101:102], s[38:39], -v[46:47]
	v_add_f64 v[56:57], v[71:72], v[56:57]
	v_add_f64 v[58:59], v[73:74], v[58:59]
	v_fma_f64 v[71:72], v[101:102], s[18:19], v[87:88]
	v_fma_f64 v[73:74], v[38:39], s[14:15], v[99:100]
	v_add_f64 v[69:70], v[111:112], v[69:70]
	v_fma_f64 v[111:112], v[38:39], s[40:41], v[50:51]
	v_fma_f64 v[50:51], v[38:39], s[36:37], v[50:51]
	v_add_f64 v[46:47], v[46:47], v[61:62]
	v_mul_f64 v[61:62], v[107:108], s[24:25]
	v_add_f64 v[89:90], v[113:114], v[115:116]
	v_add_f64 v[67:68], v[71:72], v[67:68]
	;; [unrolled: 1-line block ×3, first 2 shown]
	v_mul_f64 v[73:74], v[107:108], s[6:7]
	v_add_f64 v[95:96], v[109:110], v[95:96]
	v_add_f64 v[50:51], v[50:51], v[63:64]
	v_mul_f64 v[63:64], v[42:43], s[20:21]
	v_mul_f64 v[91:92], v[42:43], s[10:11]
	v_fma_f64 v[109:110], v[101:102], s[20:21], v[61:62]
	v_fma_f64 v[61:62], v[101:102], s[20:21], -v[61:62]
	v_add_f64 v[97:98], v[111:112], v[97:98]
	v_fma_f64 v[113:114], v[101:102], s[10:11], v[73:74]
	v_fma_f64 v[99:100], v[38:39], s[22:23], v[99:100]
	v_fma_f64 v[87:88], v[101:102], s[18:19], -v[87:88]
	v_fma_f64 v[111:112], v[38:39], s[26:27], v[63:64]
	v_fma_f64 v[63:64], v[38:39], s[24:25], v[63:64]
	;; [unrolled: 1-line block ×3, first 2 shown]
	v_add_f64 v[61:62], v[61:62], v[65:66]
	v_mul_f64 v[42:43], v[42:43], s[30:31]
	v_add_f64 v[65:66], v[113:114], v[83:84]
	v_add_f64 v[83:84], v[22:23], -v[36:37]
	v_add_f64 v[22:23], v[22:23], v[36:37]
	v_add_f64 v[81:82], v[99:100], v[81:82]
	;; [unrolled: 1-line block ×4, first 2 shown]
	v_mul_f64 v[36:37], v[107:108], s[28:29]
	v_fma_f64 v[73:74], v[101:102], s[10:11], -v[73:74]
	v_fma_f64 v[85:86], v[38:39], s[6:7], v[91:92]
	v_add_f64 v[91:92], v[75:76], v[34:35]
	v_add_f64 v[34:35], v[75:76], -v[34:35]
	v_mul_f64 v[75:76], v[83:84], s[14:15]
	v_mul_f64 v[99:100], v[22:23], s[18:19]
	v_add_f64 v[79:80], v[87:88], v[79:80]
	v_add_f64 v[87:88], v[109:110], v[93:94]
	;; [unrolled: 1-line block ×3, first 2 shown]
	v_fma_f64 v[105:106], v[101:102], s[30:31], v[36:37]
	v_fma_f64 v[107:108], v[38:39], s[34:35], v[42:43]
	v_fma_f64 v[36:37], v[101:102], s[30:31], -v[36:37]
	v_fma_f64 v[38:39], v[38:39], s[28:29], v[42:43]
	v_add_f64 v[42:43], v[73:74], v[48:49]
	v_fma_f64 v[48:49], v[91:92], s[18:19], v[75:76]
	v_fma_f64 v[73:74], v[34:35], s[22:23], v[99:100]
	v_add_f64 v[32:33], v[85:86], v[32:33]
	v_add_f64 v[69:70], v[105:106], v[69:70]
	;; [unrolled: 1-line block ×5, first 2 shown]
	v_mul_f64 v[40:41], v[83:84], s[34:35]
	v_mul_f64 v[44:45], v[22:23], s[30:31]
	v_add_f64 v[48:49], v[48:49], v[52:53]
	v_add_f64 v[52:53], v[73:74], v[54:55]
	v_fma_f64 v[54:55], v[91:92], s[18:19], -v[75:76]
	v_fma_f64 v[73:74], v[34:35], s[14:15], v[99:100]
	v_mul_f64 v[75:76], v[83:84], s[24:25]
	v_mul_f64 v[89:90], v[22:23], s[20:21]
	v_fma_f64 v[99:100], v[91:92], s[30:31], v[40:41]
	v_fma_f64 v[101:102], v[34:35], s[28:29], v[44:45]
	v_fma_f64 v[40:41], v[91:92], s[30:31], -v[40:41]
	v_fma_f64 v[44:45], v[34:35], s[34:35], v[44:45]
	v_add_f64 v[54:55], v[54:55], v[56:57]
	v_add_f64 v[56:57], v[73:74], v[58:59]
	v_fma_f64 v[58:59], v[91:92], s[20:21], v[75:76]
	v_fma_f64 v[73:74], v[34:35], s[26:27], v[89:90]
	v_add_f64 v[95:96], v[99:100], v[95:96]
	v_add_f64 v[97:98], v[101:102], v[97:98]
	;; [unrolled: 1-line block ×4, first 2 shown]
	v_mul_f64 v[46:47], v[83:84], s[0:1]
	v_mul_f64 v[50:51], v[22:23], s[2:3]
	v_add_f64 v[58:59], v[58:59], v[67:68]
	v_add_f64 v[67:68], v[73:74], v[71:72]
	v_fma_f64 v[71:72], v[91:92], s[20:21], -v[75:76]
	v_fma_f64 v[73:74], v[34:35], s[24:25], v[89:90]
	v_mul_f64 v[75:76], v[83:84], s[40:41]
	v_mul_f64 v[89:90], v[22:23], s[38:39]
	v_fma_f64 v[99:100], v[91:92], s[2:3], v[46:47]
	v_fma_f64 v[101:102], v[34:35], s[4:5], v[50:51]
	v_fma_f64 v[46:47], v[91:92], s[2:3], -v[46:47]
	v_fma_f64 v[50:51], v[34:35], s[0:1], v[50:51]
	v_add_f64 v[71:72], v[71:72], v[79:80]
	v_add_f64 v[73:74], v[73:74], v[81:82]
	v_fma_f64 v[79:80], v[91:92], s[38:39], v[75:76]
	v_fma_f64 v[81:82], v[34:35], s[36:37], v[89:90]
	v_mul_f64 v[22:23], v[22:23], s[10:11]
	v_add_f64 v[87:88], v[99:100], v[87:88]
	v_add_f64 v[46:47], v[46:47], v[61:62]
	;; [unrolled: 1-line block ×3, first 2 shown]
	v_mul_f64 v[61:62], v[83:84], s[16:17]
	v_add_f64 v[83:84], v[24:25], v[28:29]
	v_add_f64 v[63:64], v[79:80], v[65:66]
	;; [unrolled: 1-line block ×3, first 2 shown]
	v_add_f64 v[77:78], v[26:27], -v[30:31]
	v_add_f64 v[26:27], v[26:27], v[30:31]
	v_fma_f64 v[30:31], v[91:92], s[38:39], -v[75:76]
	v_fma_f64 v[75:76], v[34:35], s[40:41], v[89:90]
	v_fma_f64 v[79:80], v[91:92], s[10:11], v[61:62]
	v_add_f64 v[24:25], v[24:25], -v[28:29]
	v_fma_f64 v[81:82], v[34:35], s[6:7], v[22:23]
	v_fma_f64 v[61:62], v[91:92], s[10:11], -v[61:62]
	v_mul_f64 v[28:29], v[77:78], s[28:29]
	v_mul_f64 v[89:90], v[26:27], s[30:31]
	v_fma_f64 v[22:23], v[34:35], s[16:17], v[22:23]
	v_add_f64 v[32:33], v[75:76], v[32:33]
	v_add_f64 v[34:35], v[79:80], v[69:70]
	;; [unrolled: 1-line block ×5, first 2 shown]
	v_fma_f64 v[69:70], v[83:84], s[30:31], v[28:29]
	v_fma_f64 v[75:76], v[24:25], s[34:35], v[89:90]
	v_add_f64 v[22:23], v[22:23], v[38:39]
	v_mul_f64 v[38:39], v[77:78], s[4:5]
	v_mul_f64 v[61:62], v[26:27], s[2:3]
	v_fma_f64 v[28:29], v[83:84], s[30:31], -v[28:29]
	v_fma_f64 v[79:80], v[24:25], s[28:29], v[89:90]
	v_mul_f64 v[89:90], v[77:78], s[40:41]
	v_add_f64 v[48:49], v[69:70], v[48:49]
	v_add_f64 v[52:53], v[75:76], v[52:53]
	v_mul_f64 v[69:70], v[77:78], s[6:7]
	v_mul_f64 v[75:76], v[26:27], s[10:11]
	v_fma_f64 v[81:82], v[83:84], s[2:3], v[38:39]
	v_fma_f64 v[85:86], v[24:25], s[0:1], v[61:62]
	v_add_f64 v[28:29], v[28:29], v[54:55]
	v_add_f64 v[54:55], v[79:80], v[56:57]
	v_fma_f64 v[38:39], v[83:84], s[2:3], -v[38:39]
	v_fma_f64 v[56:57], v[24:25], s[4:5], v[61:62]
	v_fma_f64 v[61:62], v[83:84], s[10:11], v[69:70]
	;; [unrolled: 1-line block ×3, first 2 shown]
	v_mul_f64 v[91:92], v[26:27], s[38:39]
	v_add_f64 v[93:94], v[101:102], v[93:94]
	v_add_f64 v[81:82], v[81:82], v[95:96]
	;; [unrolled: 1-line block ×7, first 2 shown]
	v_fma_f64 v[58:59], v[83:84], s[10:11], -v[69:70]
	v_fma_f64 v[61:62], v[24:25], s[6:7], v[75:76]
	v_mul_f64 v[75:76], v[77:78], s[24:25]
	v_mul_f64 v[79:80], v[26:27], s[20:21]
	v_fma_f64 v[67:68], v[83:84], s[38:39], v[89:90]
	v_fma_f64 v[89:90], v[83:84], s[38:39], -v[89:90]
	v_mul_f64 v[77:78], v[77:78], s[14:15]
	v_mul_f64 v[26:27], v[26:27], s[18:19]
	v_add_f64 v[58:59], v[58:59], v[71:72]
	v_add_f64 v[61:62], v[61:62], v[73:74]
	v_fma_f64 v[71:72], v[83:84], s[20:21], v[75:76]
	v_fma_f64 v[73:74], v[24:25], s[26:27], v[79:80]
	v_fma_f64 v[75:76], v[83:84], s[20:21], -v[75:76]
	v_fma_f64 v[69:70], v[24:25], s[36:37], v[91:92]
	v_fma_f64 v[91:92], v[24:25], s[40:41], v[91:92]
	v_add_f64 v[67:68], v[67:68], v[87:88]
	v_add_f64 v[46:47], v[89:90], v[46:47]
	v_fma_f64 v[79:80], v[24:25], s[24:25], v[79:80]
	v_add_f64 v[63:64], v[71:72], v[63:64]
	v_add_f64 v[65:66], v[73:74], v[65:66]
	v_add_f64 v[71:72], v[16:17], -v[18:19]
	v_add_f64 v[73:74], v[16:17], v[18:19]
	v_add_f64 v[75:76], v[75:76], v[30:31]
	v_fma_f64 v[16:17], v[83:84], s[18:19], v[77:78]
	v_fma_f64 v[18:19], v[24:25], s[22:23], v[26:27]
	v_add_f64 v[87:88], v[8:9], v[10:11]
	v_add_f64 v[89:90], v[8:9], -v[10:11]
	v_fma_f64 v[30:31], v[83:84], s[18:19], -v[77:78]
	v_mul_f64 v[8:9], v[71:72], s[36:37]
	v_mul_f64 v[10:11], v[73:74], s[38:39]
	v_add_f64 v[50:51], v[91:92], v[50:51]
	v_add_f64 v[79:80], v[79:80], v[32:33]
	v_fma_f64 v[24:25], v[24:25], s[14:15], v[26:27]
	v_add_f64 v[77:78], v[16:17], v[34:35]
	v_add_f64 v[83:84], v[18:19], v[42:43]
	v_mul_f64 v[26:27], v[71:72], s[24:25]
	v_mul_f64 v[32:33], v[73:74], s[20:21]
	v_fma_f64 v[16:17], v[87:88], s[38:39], v[8:9]
	v_fma_f64 v[18:19], v[89:90], s[40:41], v[10:11]
	v_add_f64 v[91:92], v[30:31], v[36:37]
	v_fma_f64 v[8:9], v[87:88], s[38:39], -v[8:9]
	v_mul_f64 v[30:31], v[71:72], s[28:29]
	v_fma_f64 v[10:11], v[89:90], s[36:37], v[10:11]
	v_mul_f64 v[34:35], v[73:74], s[30:31]
	v_add_f64 v[69:70], v[69:70], v[93:94]
	v_add_f64 v[93:94], v[24:25], v[22:23]
	v_fma_f64 v[22:23], v[87:88], s[20:21], v[26:27]
	v_fma_f64 v[24:25], v[89:90], s[26:27], v[32:33]
	v_add_f64 v[16:17], v[16:17], v[48:49]
	v_add_f64 v[18:19], v[18:19], v[52:53]
	;; [unrolled: 1-line block ×3, first 2 shown]
	v_fma_f64 v[26:27], v[87:88], s[20:21], -v[26:27]
	v_fma_f64 v[28:29], v[89:90], s[24:25], v[32:33]
	v_fma_f64 v[32:33], v[87:88], s[30:31], v[30:31]
	v_mul_f64 v[42:43], v[71:72], s[16:17]
	v_mul_f64 v[48:49], v[73:74], s[10:11]
	v_fma_f64 v[52:53], v[87:88], s[30:31], -v[30:31]
	v_add_f64 v[10:11], v[10:11], v[54:55]
	v_fma_f64 v[36:37], v[89:90], s[34:35], v[34:35]
	v_fma_f64 v[54:55], v[89:90], s[28:29], v[34:35]
	v_add_f64 v[26:27], v[26:27], v[38:39]
	v_add_f64 v[28:29], v[28:29], v[40:41]
	;; [unrolled: 1-line block ×3, first 2 shown]
	v_fma_f64 v[38:39], v[87:88], s[10:11], v[42:43]
	v_fma_f64 v[40:41], v[89:90], s[6:7], v[48:49]
	v_add_f64 v[34:35], v[52:53], v[58:59]
	v_fma_f64 v[42:43], v[87:88], s[10:11], -v[42:43]
	v_fma_f64 v[44:45], v[89:90], s[16:17], v[48:49]
	v_mul_f64 v[48:49], v[71:72], s[14:15]
	v_mul_f64 v[52:53], v[73:74], s[18:19]
	v_add_f64 v[32:33], v[36:37], v[56:57]
	v_add_f64 v[36:37], v[54:55], v[61:62]
	v_mul_f64 v[54:55], v[71:72], s[4:5]
	v_mul_f64 v[56:57], v[73:74], s[2:3]
	v_add_f64 v[42:43], v[42:43], v[46:47]
	v_add_f64 v[44:45], v[44:45], v[50:51]
	v_fma_f64 v[46:47], v[87:88], s[18:19], v[48:49]
	v_fma_f64 v[50:51], v[89:90], s[22:23], v[52:53]
	v_fma_f64 v[58:59], v[87:88], s[18:19], -v[48:49]
	v_add_f64 v[38:39], v[38:39], v[67:68]
	v_fma_f64 v[61:62], v[87:88], s[2:3], v[54:55]
	v_fma_f64 v[67:68], v[89:90], s[0:1], v[56:57]
	v_add_f64 v[40:41], v[40:41], v[69:70]
	v_fma_f64 v[52:53], v[89:90], s[14:15], v[52:53]
	v_fma_f64 v[69:70], v[87:88], s[2:3], -v[54:55]
	v_fma_f64 v[71:72], v[89:90], s[4:5], v[56:57]
	v_add_f64 v[22:23], v[22:23], v[81:82]
	v_add_f64 v[24:25], v[24:25], v[85:86]
	v_add_f64 v[46:47], v[46:47], v[63:64]
	v_add_f64 v[48:49], v[50:51], v[65:66]
	v_add_f64 v[50:51], v[58:59], v[75:76]
	v_mov_b32_e32 v58, 4
	v_add_f64 v[54:55], v[61:62], v[77:78]
	v_add_f64 v[56:57], v[67:68], v[83:84]
	v_lshlrev_b32_sdwa v21, v58, v21 dst_sel:DWORD dst_unused:UNUSED_PAD src0_sel:DWORD src1_sel:BYTE_0
	v_add_f64 v[52:53], v[52:53], v[79:80]
	v_add_f64 v[61:62], v[69:70], v[91:92]
	;; [unrolled: 1-line block ×3, first 2 shown]
	v_add3_u32 v20, 0, v20, v21
	ds_write_b128 v20, v[12:15]
	ds_write_b128 v20, v[16:19] offset:272
	ds_write_b128 v20, v[22:25] offset:544
	;; [unrolled: 1-line block ×12, first 2 shown]
	s_waitcnt lgkmcnt(0)
	; wave barrier
	s_waitcnt lgkmcnt(0)
	ds_read_b128 v[12:15], v60
	ds_read_b128 v[16:19], v60 offset:816
	ds_read_b128 v[36:39], v60 offset:3536
	;; [unrolled: 1-line block ×11, first 2 shown]
	v_cmp_gt_u32_e64 s[0:1], 17, v104
	s_and_saveexec_b64 s[2:3], s[0:1]
	s_cbranch_execz .LBB0_15
; %bb.14:
	ds_read_b128 v[8:11], v60 offset:3264
	ds_read_b128 v[0:3], v60 offset:6800
	;; [unrolled: 1-line block ×3, first 2 shown]
.LBB0_15:
	s_or_b64 exec, exec, s[2:3]
	s_and_saveexec_b64 s[2:3], vcc
	s_cbranch_execz .LBB0_18
; %bb.16:
	v_add_u32_e32 v62, 0x99, v104
	v_lshlrev_b32_e32 v60, 1, v62
	v_mov_b32_e32 v61, 0
	v_lshlrev_b64 v[63:64], 4, v[60:61]
	v_add_u32_e32 v103, 0x66, v104
	v_mov_b32_e32 v92, s9
	v_add_co_u32_e32 v71, vcc, s8, v63
	v_addc_co_u32_e32 v72, vcc, v92, v64, vcc
	v_lshlrev_b32_e32 v60, 1, v103
	global_load_dwordx4 v[63:66], v[71:72], off offset:3280
	global_load_dwordx4 v[67:70], v[71:72], off offset:3264
	v_lshlrev_b64 v[71:72], 4, v[60:61]
	v_lshlrev_b32_e32 v89, 1, v104
	v_add_co_u32_e32 v87, vcc, s8, v71
	v_mov_b32_e32 v90, v61
	v_addc_co_u32_e32 v88, vcc, v92, v72, vcc
	v_lshlrev_b64 v[71:72], 4, v[89:90]
	v_add_u32_e32 v60, 0x66, v89
	v_add_co_u32_e32 v90, vcc, s8, v71
	v_addc_co_u32_e32 v91, vcc, v92, v72, vcc
	global_load_dwordx4 v[71:74], v[90:91], off offset:3280
	global_load_dwordx4 v[75:78], v[90:91], off offset:3264
	;; [unrolled: 1-line block ×4, first 2 shown]
	v_lshlrev_b64 v[87:88], 4, v[60:61]
	s_mov_b32 s2, 0xe8584caa
	v_add_co_u32_e32 v95, vcc, s8, v87
	v_addc_co_u32_e32 v96, vcc, v92, v88, vcc
	global_load_dwordx4 v[87:90], v[95:96], off offset:3264
	global_load_dwordx4 v[91:94], v[95:96], off offset:3280
	s_mov_b32 s3, 0xbfebb67a
	s_mov_b32 s5, 0x3febb67a
	;; [unrolled: 1-line block ×3, first 2 shown]
	s_movk_i32 s6, 0x1000
	s_movk_i32 s7, 0x660
	s_waitcnt vmcnt(7) lgkmcnt(0)
	v_mul_f64 v[97:98], v[56:57], v[65:66]
	s_waitcnt vmcnt(6)
	v_mul_f64 v[95:96], v[52:53], v[69:70]
	v_mul_f64 v[69:70], v[54:55], v[69:70]
	;; [unrolled: 1-line block ×3, first 2 shown]
	v_fma_f64 v[58:59], v[58:59], v[63:64], -v[97:98]
	v_fma_f64 v[54:55], v[54:55], v[67:68], -v[95:96]
	v_fma_f64 v[52:53], v[52:53], v[67:68], v[69:70]
	v_fma_f64 v[56:57], v[56:57], v[63:64], v[65:66]
	s_waitcnt vmcnt(5)
	v_mul_f64 v[101:102], v[40:41], v[73:74]
	s_waitcnt vmcnt(4)
	v_mul_f64 v[99:100], v[36:37], v[77:78]
	v_mul_f64 v[77:78], v[38:39], v[77:78]
	v_mul_f64 v[73:74], v[42:43], v[73:74]
	s_waitcnt vmcnt(2)
	v_mul_f64 v[105:106], v[44:45], v[85:86]
	v_mul_f64 v[107:108], v[48:49], v[81:82]
	;; [unrolled: 1-line block ×4, first 2 shown]
	v_fma_f64 v[63:64], v[42:43], v[71:72], -v[101:102]
	s_waitcnt vmcnt(1)
	v_mul_f64 v[109:110], v[28:29], v[89:90]
	s_waitcnt vmcnt(0)
	v_mul_f64 v[111:112], v[32:33], v[93:94]
	v_mul_f64 v[89:90], v[30:31], v[89:90]
	;; [unrolled: 1-line block ×3, first 2 shown]
	v_fma_f64 v[38:39], v[38:39], v[75:76], -v[99:100]
	v_fma_f64 v[65:66], v[36:37], v[75:76], v[77:78]
	v_fma_f64 v[67:68], v[40:41], v[71:72], v[73:74]
	v_fma_f64 v[36:37], v[46:47], v[83:84], -v[105:106]
	v_fma_f64 v[40:41], v[50:51], v[79:80], -v[107:108]
	v_fma_f64 v[42:43], v[44:45], v[83:84], v[85:86]
	v_fma_f64 v[44:45], v[48:49], v[79:80], v[81:82]
	v_fma_f64 v[30:31], v[30:31], v[87:88], -v[109:110]
	v_fma_f64 v[34:35], v[34:35], v[91:92], -v[111:112]
	v_fma_f64 v[28:29], v[28:29], v[87:88], v[89:90]
	v_fma_f64 v[69:70], v[32:33], v[91:92], v[93:94]
	v_add_f64 v[32:33], v[54:55], v[58:59]
	v_add_f64 v[46:47], v[52:53], -v[56:57]
	v_add_f64 v[48:49], v[26:27], v[54:55]
	v_add_f64 v[50:51], v[54:55], -v[58:59]
	v_add_f64 v[54:55], v[52:53], v[56:57]
	v_add_f64 v[52:53], v[24:25], v[52:53]
	;; [unrolled: 1-line block ×4, first 2 shown]
	v_add_f64 v[77:78], v[38:39], -v[63:64]
	v_add_f64 v[38:39], v[65:66], v[67:68]
	v_add_f64 v[79:80], v[36:37], v[40:41]
	v_add_f64 v[81:82], v[42:43], -v[44:45]
	v_add_f64 v[83:84], v[22:23], v[36:37]
	v_add_f64 v[85:86], v[36:37], -v[40:41]
	v_add_f64 v[36:37], v[42:43], v[44:45]
	v_add_f64 v[42:43], v[20:21], v[42:43]
	;; [unrolled: 1-line block ×4, first 2 shown]
	v_add_f64 v[93:94], v[30:31], -v[34:35]
	v_add_f64 v[30:31], v[28:29], v[69:70]
	v_add_f64 v[73:74], v[65:66], -v[67:68]
	v_add_f64 v[89:90], v[28:29], -v[69:70]
	v_add_f64 v[95:96], v[16:17], v[28:29]
	v_fma_f64 v[28:29], v[32:33], -0.5, v[26:27]
	v_fma_f64 v[32:33], v[54:55], -0.5, v[24:25]
	v_add_f64 v[24:25], v[52:53], v[56:57]
	v_fma_f64 v[14:15], v[71:72], -0.5, v[14:15]
	v_fma_f64 v[56:57], v[38:39], -0.5, v[12:13]
	v_add_f64 v[12:13], v[12:13], v[65:66]
	v_add_f64 v[26:27], v[48:49], v[58:59]
	v_fma_f64 v[48:49], v[79:80], -0.5, v[22:23]
	v_add_f64 v[22:23], v[83:84], v[40:41]
	v_fma_f64 v[40:41], v[36:37], -0.5, v[20:21]
	;; [unrolled: 2-line block ×3, first 2 shown]
	v_fma_f64 v[16:17], v[30:31], -0.5, v[16:17]
	v_fma_f64 v[54:55], v[73:74], s[2:3], v[14:15]
	v_add_f64 v[65:66], v[75:76], v[63:64]
	v_fma_f64 v[52:53], v[77:78], s[4:5], v[56:57]
	v_add_f64 v[63:64], v[12:13], v[67:68]
	v_fma_f64 v[58:59], v[73:74], s[4:5], v[14:15]
	v_fma_f64 v[56:57], v[77:78], s[2:3], v[56:57]
	v_mov_b32_e32 v105, v61
	v_mov_b32_e32 v12, s13
	v_add_co_u32_e32 v14, vcc, s12, v168
	v_addc_co_u32_e32 v15, vcc, v12, v169, vcc
	v_lshlrev_b64 v[12:13], 4, v[104:105]
	v_add_f64 v[18:19], v[91:92], v[34:35]
	v_fma_f64 v[30:31], v[46:47], s[2:3], v[28:29]
	v_fma_f64 v[34:35], v[46:47], s[4:5], v[28:29]
	;; [unrolled: 1-line block ×10, first 2 shown]
	v_add_f64 v[16:17], v[95:96], v[69:70]
	v_add_co_u32_e32 v12, vcc, v14, v12
	v_addc_co_u32_e32 v13, vcc, v15, v13, vcc
	v_add_co_u32_e32 v14, vcc, s6, v12
	v_addc_co_u32_e32 v15, vcc, 0, v13, vcc
	s_mov_b32 s6, 0x288b0129
	global_store_dwordx4 v[12:13], v[63:66], off
	global_store_dwordx4 v[12:13], v[56:59], off offset:3536
	global_store_dwordx4 v[14:15], v[52:55], off offset:2976
	;; [unrolled: 1-line block ×5, first 2 shown]
	v_mul_hi_u32 v52, v103, s6
	v_fma_f64 v[36:37], v[85:86], s[4:5], v[40:41]
	v_fma_f64 v[40:41], v[85:86], s[2:3], v[40:41]
	v_sub_u32_e32 v14, v103, v52
	v_lshrrev_b32_e32 v14, 1, v14
	v_add_u32_e32 v14, v14, v52
	v_lshrrev_b32_e32 v14, 7, v14
	v_mul_u32_u24_e32 v60, 0x1ba, v14
	v_lshlrev_b64 v[14:15], 4, v[60:61]
	v_add_co_u32_e32 v14, vcc, v12, v14
	v_addc_co_u32_e32 v15, vcc, v13, v15, vcc
	v_add_co_u32_e32 v16, vcc, s7, v14
	v_addc_co_u32_e32 v17, vcc, 0, v15, vcc
	global_store_dwordx4 v[14:15], v[20:23], off offset:1632
	global_store_dwordx4 v[16:17], v[40:43], off offset:3536
	v_mul_hi_u32 v16, v62, s6
	s_movk_i32 s7, 0x2000
	v_add_co_u32_e32 v14, vcc, s7, v14
	v_addc_co_u32_e32 v15, vcc, 0, v15, vcc
	global_store_dwordx4 v[14:15], v[36:39], off offset:512
	v_sub_u32_e32 v14, v62, v16
	v_lshrrev_b32_e32 v14, 1, v14
	v_add_u32_e32 v14, v14, v16
	v_lshrrev_b32_e32 v14, 7, v14
	v_mul_u32_u24_e32 v60, 0x1ba, v14
	v_lshlrev_b64 v[14:15], 4, v[60:61]
	v_add_co_u32_e32 v14, vcc, v12, v14
	v_addc_co_u32_e32 v15, vcc, v13, v15, vcc
	v_add_co_u32_e32 v16, vcc, 0x990, v14
	v_addc_co_u32_e32 v17, vcc, 0, v15, vcc
	global_store_dwordx4 v[14:15], v[24:27], off offset:2448
	global_store_dwordx4 v[16:17], v[32:35], off offset:3536
	v_add_co_u32_e32 v14, vcc, 0x2000, v14
	v_addc_co_u32_e32 v15, vcc, 0, v15, vcc
	global_store_dwordx4 v[14:15], v[28:31], off offset:1328
	s_and_b64 exec, exec, s[0:1]
	s_cbranch_execz .LBB0_18
; %bb.17:
	v_not_b32_e32 v14, 16
	v_mov_b32_e32 v15, 0xcc
	v_cndmask_b32_e64 v14, v14, v15, s[0:1]
	v_add_lshl_u32 v60, v104, v14, 1
	v_lshlrev_b64 v[14:15], 4, v[60:61]
	v_mov_b32_e32 v16, s9
	v_add_co_u32_e32 v22, vcc, s8, v14
	v_addc_co_u32_e32 v23, vcc, v16, v15, vcc
	global_load_dwordx4 v[14:17], v[22:23], off offset:3264
	global_load_dwordx4 v[18:21], v[22:23], off offset:3280
	s_waitcnt vmcnt(1)
	v_mul_f64 v[22:23], v[2:3], v[16:17]
	s_waitcnt vmcnt(0)
	v_mul_f64 v[24:25], v[6:7], v[20:21]
	v_mul_f64 v[16:17], v[0:1], v[16:17]
	;; [unrolled: 1-line block ×3, first 2 shown]
	v_fma_f64 v[0:1], v[0:1], v[14:15], v[22:23]
	v_fma_f64 v[4:5], v[4:5], v[18:19], v[24:25]
	v_fma_f64 v[2:3], v[2:3], v[14:15], -v[16:17]
	v_fma_f64 v[6:7], v[6:7], v[18:19], -v[20:21]
	v_add_co_u32_e32 v18, vcc, 0x1000, v12
	v_addc_co_u32_e32 v19, vcc, 0, v13, vcc
	v_add_f64 v[20:21], v[8:9], v[0:1]
	v_add_f64 v[14:15], v[0:1], v[4:5]
	;; [unrolled: 1-line block ×3, first 2 shown]
	v_add_f64 v[22:23], v[2:3], -v[6:7]
	v_add_f64 v[2:3], v[10:11], v[2:3]
	v_fma_f64 v[8:9], v[14:15], -0.5, v[8:9]
	v_add_f64 v[14:15], v[0:1], -v[4:5]
	v_fma_f64 v[10:11], v[16:17], -0.5, v[10:11]
	v_add_f64 v[0:1], v[20:21], v[4:5]
	v_add_f64 v[2:3], v[2:3], v[6:7]
	v_fma_f64 v[4:5], v[22:23], s[2:3], v[8:9]
	v_fma_f64 v[8:9], v[22:23], s[4:5], v[8:9]
	;; [unrolled: 1-line block ×4, first 2 shown]
	v_add_co_u32_e32 v14, vcc, 0x2000, v12
	v_addc_co_u32_e32 v15, vcc, 0, v13, vcc
	global_store_dwordx4 v[12:13], v[0:3], off offset:3264
	global_store_dwordx4 v[18:19], v[4:7], off offset:2704
	;; [unrolled: 1-line block ×3, first 2 shown]
.LBB0_18:
	s_endpgm
	.section	.rodata,"a",@progbits
	.p2align	6, 0x0
	.amdhsa_kernel fft_rtc_back_len663_factors_17_13_3_wgs_51_tpt_51_dp_ip_CI_unitstride_sbrr_dirReg
		.amdhsa_group_segment_fixed_size 0
		.amdhsa_private_segment_fixed_size 60
		.amdhsa_kernarg_size 88
		.amdhsa_user_sgpr_count 6
		.amdhsa_user_sgpr_private_segment_buffer 1
		.amdhsa_user_sgpr_dispatch_ptr 0
		.amdhsa_user_sgpr_queue_ptr 0
		.amdhsa_user_sgpr_kernarg_segment_ptr 1
		.amdhsa_user_sgpr_dispatch_id 0
		.amdhsa_user_sgpr_flat_scratch_init 0
		.amdhsa_user_sgpr_private_segment_size 0
		.amdhsa_uses_dynamic_stack 0
		.amdhsa_system_sgpr_private_segment_wavefront_offset 1
		.amdhsa_system_sgpr_workgroup_id_x 1
		.amdhsa_system_sgpr_workgroup_id_y 0
		.amdhsa_system_sgpr_workgroup_id_z 0
		.amdhsa_system_sgpr_workgroup_info 0
		.amdhsa_system_vgpr_workitem_id 0
		.amdhsa_next_free_vgpr 256
		.amdhsa_next_free_sgpr 60
		.amdhsa_reserve_vcc 1
		.amdhsa_reserve_flat_scratch 0
		.amdhsa_float_round_mode_32 0
		.amdhsa_float_round_mode_16_64 0
		.amdhsa_float_denorm_mode_32 3
		.amdhsa_float_denorm_mode_16_64 3
		.amdhsa_dx10_clamp 1
		.amdhsa_ieee_mode 1
		.amdhsa_fp16_overflow 0
		.amdhsa_exception_fp_ieee_invalid_op 0
		.amdhsa_exception_fp_denorm_src 0
		.amdhsa_exception_fp_ieee_div_zero 0
		.amdhsa_exception_fp_ieee_overflow 0
		.amdhsa_exception_fp_ieee_underflow 0
		.amdhsa_exception_fp_ieee_inexact 0
		.amdhsa_exception_int_div_zero 0
	.end_amdhsa_kernel
	.text
.Lfunc_end0:
	.size	fft_rtc_back_len663_factors_17_13_3_wgs_51_tpt_51_dp_ip_CI_unitstride_sbrr_dirReg, .Lfunc_end0-fft_rtc_back_len663_factors_17_13_3_wgs_51_tpt_51_dp_ip_CI_unitstride_sbrr_dirReg
                                        ; -- End function
	.section	.AMDGPU.csdata,"",@progbits
; Kernel info:
; codeLenInByte = 14092
; NumSgprs: 64
; NumVgprs: 256
; ScratchSize: 60
; MemoryBound: 1
; FloatMode: 240
; IeeeMode: 1
; LDSByteSize: 0 bytes/workgroup (compile time only)
; SGPRBlocks: 7
; VGPRBlocks: 63
; NumSGPRsForWavesPerEU: 64
; NumVGPRsForWavesPerEU: 256
; Occupancy: 1
; WaveLimiterHint : 1
; COMPUTE_PGM_RSRC2:SCRATCH_EN: 1
; COMPUTE_PGM_RSRC2:USER_SGPR: 6
; COMPUTE_PGM_RSRC2:TRAP_HANDLER: 0
; COMPUTE_PGM_RSRC2:TGID_X_EN: 1
; COMPUTE_PGM_RSRC2:TGID_Y_EN: 0
; COMPUTE_PGM_RSRC2:TGID_Z_EN: 0
; COMPUTE_PGM_RSRC2:TIDIG_COMP_CNT: 0
	.type	__hip_cuid_a875f45628aa6d01,@object ; @__hip_cuid_a875f45628aa6d01
	.section	.bss,"aw",@nobits
	.globl	__hip_cuid_a875f45628aa6d01
__hip_cuid_a875f45628aa6d01:
	.byte	0                               ; 0x0
	.size	__hip_cuid_a875f45628aa6d01, 1

	.ident	"AMD clang version 19.0.0git (https://github.com/RadeonOpenCompute/llvm-project roc-6.4.0 25133 c7fe45cf4b819c5991fe208aaa96edf142730f1d)"
	.section	".note.GNU-stack","",@progbits
	.addrsig
	.addrsig_sym __hip_cuid_a875f45628aa6d01
	.amdgpu_metadata
---
amdhsa.kernels:
  - .args:
      - .actual_access:  read_only
        .address_space:  global
        .offset:         0
        .size:           8
        .value_kind:     global_buffer
      - .offset:         8
        .size:           8
        .value_kind:     by_value
      - .actual_access:  read_only
        .address_space:  global
        .offset:         16
        .size:           8
        .value_kind:     global_buffer
      - .actual_access:  read_only
        .address_space:  global
        .offset:         24
        .size:           8
        .value_kind:     global_buffer
      - .offset:         32
        .size:           8
        .value_kind:     by_value
      - .actual_access:  read_only
        .address_space:  global
        .offset:         40
        .size:           8
        .value_kind:     global_buffer
      - .actual_access:  read_only
        .address_space:  global
        .offset:         48
        .size:           8
        .value_kind:     global_buffer
      - .offset:         56
        .size:           4
        .value_kind:     by_value
      - .actual_access:  read_only
        .address_space:  global
        .offset:         64
        .size:           8
        .value_kind:     global_buffer
      - .actual_access:  read_only
        .address_space:  global
        .offset:         72
        .size:           8
        .value_kind:     global_buffer
      - .address_space:  global
        .offset:         80
        .size:           8
        .value_kind:     global_buffer
    .group_segment_fixed_size: 0
    .kernarg_segment_align: 8
    .kernarg_segment_size: 88
    .language:       OpenCL C
    .language_version:
      - 2
      - 0
    .max_flat_workgroup_size: 51
    .name:           fft_rtc_back_len663_factors_17_13_3_wgs_51_tpt_51_dp_ip_CI_unitstride_sbrr_dirReg
    .private_segment_fixed_size: 60
    .sgpr_count:     64
    .sgpr_spill_count: 0
    .symbol:         fft_rtc_back_len663_factors_17_13_3_wgs_51_tpt_51_dp_ip_CI_unitstride_sbrr_dirReg.kd
    .uniform_work_group_size: 1
    .uses_dynamic_stack: false
    .vgpr_count:     256
    .vgpr_spill_count: 14
    .wavefront_size: 64
amdhsa.target:   amdgcn-amd-amdhsa--gfx906
amdhsa.version:
  - 1
  - 2
...

	.end_amdgpu_metadata
